;; amdgpu-corpus repo=ROCm/rocFFT kind=compiled arch=gfx1201 opt=O3
	.text
	.amdgcn_target "amdgcn-amd-amdhsa--gfx1201"
	.amdhsa_code_object_version 6
	.protected	fft_rtc_back_len4050_factors_10_5_3_3_3_3_wgs_135_tpt_135_halfLds_half_op_CI_CI_unitstride_sbrr_dirReg ; -- Begin function fft_rtc_back_len4050_factors_10_5_3_3_3_3_wgs_135_tpt_135_halfLds_half_op_CI_CI_unitstride_sbrr_dirReg
	.globl	fft_rtc_back_len4050_factors_10_5_3_3_3_3_wgs_135_tpt_135_halfLds_half_op_CI_CI_unitstride_sbrr_dirReg
	.p2align	8
	.type	fft_rtc_back_len4050_factors_10_5_3_3_3_3_wgs_135_tpt_135_halfLds_half_op_CI_CI_unitstride_sbrr_dirReg,@function
fft_rtc_back_len4050_factors_10_5_3_3_3_3_wgs_135_tpt_135_halfLds_half_op_CI_CI_unitstride_sbrr_dirReg: ; @fft_rtc_back_len4050_factors_10_5_3_3_3_3_wgs_135_tpt_135_halfLds_half_op_CI_CI_unitstride_sbrr_dirReg
; %bb.0:
	s_clause 0x2
	s_load_b128 s[8:11], s[0:1], 0x0
	s_load_b128 s[4:7], s[0:1], 0x58
	;; [unrolled: 1-line block ×3, first 2 shown]
	v_mul_u32_u24_e32 v1, 0x1e6, v0
	v_mov_b32_e32 v7, 0
	v_mov_b32_e32 v5, 0
	;; [unrolled: 1-line block ×3, first 2 shown]
	s_delay_alu instid0(VALU_DEP_4) | instskip(NEXT) | instid1(VALU_DEP_1)
	v_lshrrev_b32_e32 v1, 16, v1
	v_dual_mov_b32 v10, v7 :: v_dual_add_nc_u32 v9, ttmp9, v1
	s_wait_kmcnt 0x0
	v_cmp_lt_u64_e64 s2, s[10:11], 2
	s_delay_alu instid0(VALU_DEP_1)
	s_and_b32 vcc_lo, exec_lo, s2
	s_cbranch_vccnz .LBB0_8
; %bb.1:
	s_load_b64 s[2:3], s[0:1], 0x10
	v_mov_b32_e32 v5, 0
	v_mov_b32_e32 v6, 0
	s_delay_alu instid0(VALU_DEP_2)
	v_mov_b32_e32 v1, v5
	s_add_nc_u64 s[16:17], s[14:15], 8
	s_add_nc_u64 s[18:19], s[12:13], 8
	s_mov_b64 s[20:21], 1
	v_mov_b32_e32 v2, v6
	s_wait_kmcnt 0x0
	s_add_nc_u64 s[22:23], s[2:3], 8
	s_mov_b32 s3, 0
.LBB0_2:                                ; =>This Inner Loop Header: Depth=1
	s_load_b64 s[24:25], s[22:23], 0x0
                                        ; implicit-def: $vgpr3_vgpr4
	s_mov_b32 s2, exec_lo
	s_wait_kmcnt 0x0
	v_or_b32_e32 v8, s25, v10
	s_delay_alu instid0(VALU_DEP_1)
	v_cmpx_ne_u64_e32 0, v[7:8]
	s_wait_alu 0xfffe
	s_xor_b32 s26, exec_lo, s2
	s_cbranch_execz .LBB0_4
; %bb.3:                                ;   in Loop: Header=BB0_2 Depth=1
	s_cvt_f32_u32 s2, s24
	s_cvt_f32_u32 s27, s25
	s_sub_nc_u64 s[30:31], 0, s[24:25]
	s_wait_alu 0xfffe
	s_delay_alu instid0(SALU_CYCLE_1) | instskip(SKIP_1) | instid1(SALU_CYCLE_2)
	s_fmamk_f32 s2, s27, 0x4f800000, s2
	s_wait_alu 0xfffe
	v_s_rcp_f32 s2, s2
	s_delay_alu instid0(TRANS32_DEP_1) | instskip(SKIP_1) | instid1(SALU_CYCLE_2)
	s_mul_f32 s2, s2, 0x5f7ffffc
	s_wait_alu 0xfffe
	s_mul_f32 s27, s2, 0x2f800000
	s_wait_alu 0xfffe
	s_delay_alu instid0(SALU_CYCLE_2) | instskip(SKIP_1) | instid1(SALU_CYCLE_2)
	s_trunc_f32 s27, s27
	s_wait_alu 0xfffe
	s_fmamk_f32 s2, s27, 0xcf800000, s2
	s_cvt_u32_f32 s29, s27
	s_wait_alu 0xfffe
	s_delay_alu instid0(SALU_CYCLE_1) | instskip(SKIP_1) | instid1(SALU_CYCLE_2)
	s_cvt_u32_f32 s28, s2
	s_wait_alu 0xfffe
	s_mul_u64 s[34:35], s[30:31], s[28:29]
	s_wait_alu 0xfffe
	s_mul_hi_u32 s37, s28, s35
	s_mul_i32 s36, s28, s35
	s_mul_hi_u32 s2, s28, s34
	s_mul_i32 s33, s29, s34
	s_wait_alu 0xfffe
	s_add_nc_u64 s[36:37], s[2:3], s[36:37]
	s_mul_hi_u32 s27, s29, s34
	s_mul_hi_u32 s38, s29, s35
	s_add_co_u32 s2, s36, s33
	s_wait_alu 0xfffe
	s_add_co_ci_u32 s2, s37, s27
	s_mul_i32 s34, s29, s35
	s_add_co_ci_u32 s35, s38, 0
	s_wait_alu 0xfffe
	s_add_nc_u64 s[34:35], s[2:3], s[34:35]
	s_wait_alu 0xfffe
	v_add_co_u32 v3, s2, s28, s34
	s_delay_alu instid0(VALU_DEP_1) | instskip(SKIP_1) | instid1(VALU_DEP_1)
	s_cmp_lg_u32 s2, 0
	s_add_co_ci_u32 s29, s29, s35
	v_readfirstlane_b32 s28, v3
	s_wait_alu 0xfffe
	s_delay_alu instid0(VALU_DEP_1)
	s_mul_u64 s[30:31], s[30:31], s[28:29]
	s_wait_alu 0xfffe
	s_mul_hi_u32 s35, s28, s31
	s_mul_i32 s34, s28, s31
	s_mul_hi_u32 s2, s28, s30
	s_mul_i32 s33, s29, s30
	s_wait_alu 0xfffe
	s_add_nc_u64 s[34:35], s[2:3], s[34:35]
	s_mul_hi_u32 s27, s29, s30
	s_mul_hi_u32 s28, s29, s31
	s_wait_alu 0xfffe
	s_add_co_u32 s2, s34, s33
	s_add_co_ci_u32 s2, s35, s27
	s_mul_i32 s30, s29, s31
	s_add_co_ci_u32 s31, s28, 0
	s_wait_alu 0xfffe
	s_add_nc_u64 s[30:31], s[2:3], s[30:31]
	s_wait_alu 0xfffe
	v_add_co_u32 v8, s2, v3, s30
	s_delay_alu instid0(VALU_DEP_1) | instskip(SKIP_1) | instid1(VALU_DEP_1)
	s_cmp_lg_u32 s2, 0
	s_add_co_ci_u32 s2, s29, s31
	v_mul_hi_u32 v15, v9, v8
	s_wait_alu 0xfffe
	v_mad_co_u64_u32 v[3:4], null, v9, s2, 0
	v_mad_co_u64_u32 v[11:12], null, v10, v8, 0
	;; [unrolled: 1-line block ×3, first 2 shown]
	s_delay_alu instid0(VALU_DEP_3) | instskip(SKIP_1) | instid1(VALU_DEP_4)
	v_add_co_u32 v3, vcc_lo, v15, v3
	s_wait_alu 0xfffd
	v_add_co_ci_u32_e32 v4, vcc_lo, 0, v4, vcc_lo
	s_delay_alu instid0(VALU_DEP_2) | instskip(SKIP_1) | instid1(VALU_DEP_2)
	v_add_co_u32 v3, vcc_lo, v3, v11
	s_wait_alu 0xfffd
	v_add_co_ci_u32_e32 v3, vcc_lo, v4, v12, vcc_lo
	s_wait_alu 0xfffd
	v_add_co_ci_u32_e32 v4, vcc_lo, 0, v14, vcc_lo
	s_delay_alu instid0(VALU_DEP_2) | instskip(SKIP_1) | instid1(VALU_DEP_2)
	v_add_co_u32 v8, vcc_lo, v3, v13
	s_wait_alu 0xfffd
	v_add_co_ci_u32_e32 v11, vcc_lo, 0, v4, vcc_lo
	s_delay_alu instid0(VALU_DEP_2) | instskip(SKIP_1) | instid1(VALU_DEP_3)
	v_mul_lo_u32 v12, s25, v8
	v_mad_co_u64_u32 v[3:4], null, s24, v8, 0
	v_mul_lo_u32 v13, s24, v11
	s_delay_alu instid0(VALU_DEP_2) | instskip(NEXT) | instid1(VALU_DEP_2)
	v_sub_co_u32 v3, vcc_lo, v9, v3
	v_add3_u32 v4, v4, v13, v12
	s_delay_alu instid0(VALU_DEP_1) | instskip(SKIP_1) | instid1(VALU_DEP_1)
	v_sub_nc_u32_e32 v12, v10, v4
	s_wait_alu 0xfffd
	v_subrev_co_ci_u32_e64 v12, s2, s25, v12, vcc_lo
	v_add_co_u32 v13, s2, v8, 2
	s_wait_alu 0xf1ff
	v_add_co_ci_u32_e64 v14, s2, 0, v11, s2
	v_sub_co_u32 v15, s2, v3, s24
	v_sub_co_ci_u32_e32 v4, vcc_lo, v10, v4, vcc_lo
	s_wait_alu 0xf1ff
	v_subrev_co_ci_u32_e64 v12, s2, 0, v12, s2
	s_delay_alu instid0(VALU_DEP_3) | instskip(NEXT) | instid1(VALU_DEP_3)
	v_cmp_le_u32_e32 vcc_lo, s24, v15
	v_cmp_eq_u32_e64 s2, s25, v4
	s_wait_alu 0xfffd
	v_cndmask_b32_e64 v15, 0, -1, vcc_lo
	v_cmp_le_u32_e32 vcc_lo, s25, v12
	s_wait_alu 0xfffd
	v_cndmask_b32_e64 v16, 0, -1, vcc_lo
	v_cmp_le_u32_e32 vcc_lo, s24, v3
	;; [unrolled: 3-line block ×3, first 2 shown]
	s_wait_alu 0xfffd
	v_cndmask_b32_e64 v17, 0, -1, vcc_lo
	v_cmp_eq_u32_e32 vcc_lo, s25, v12
	s_wait_alu 0xf1ff
	s_delay_alu instid0(VALU_DEP_2)
	v_cndmask_b32_e64 v3, v17, v3, s2
	s_wait_alu 0xfffd
	v_cndmask_b32_e32 v12, v16, v15, vcc_lo
	v_add_co_u32 v15, vcc_lo, v8, 1
	s_wait_alu 0xfffd
	v_add_co_ci_u32_e32 v16, vcc_lo, 0, v11, vcc_lo
	s_delay_alu instid0(VALU_DEP_3) | instskip(SKIP_1) | instid1(VALU_DEP_2)
	v_cmp_ne_u32_e32 vcc_lo, 0, v12
	s_wait_alu 0xfffd
	v_cndmask_b32_e32 v4, v16, v14, vcc_lo
	v_cndmask_b32_e32 v12, v15, v13, vcc_lo
	v_cmp_ne_u32_e32 vcc_lo, 0, v3
	s_wait_alu 0xfffd
	s_delay_alu instid0(VALU_DEP_3) | instskip(NEXT) | instid1(VALU_DEP_3)
	v_cndmask_b32_e32 v4, v11, v4, vcc_lo
	v_cndmask_b32_e32 v3, v8, v12, vcc_lo
.LBB0_4:                                ;   in Loop: Header=BB0_2 Depth=1
	s_wait_alu 0xfffe
	s_and_not1_saveexec_b32 s2, s26
	s_cbranch_execz .LBB0_6
; %bb.5:                                ;   in Loop: Header=BB0_2 Depth=1
	v_cvt_f32_u32_e32 v3, s24
	s_sub_co_i32 s26, 0, s24
	s_delay_alu instid0(VALU_DEP_1) | instskip(NEXT) | instid1(TRANS32_DEP_1)
	v_rcp_iflag_f32_e32 v3, v3
	v_mul_f32_e32 v3, 0x4f7ffffe, v3
	s_delay_alu instid0(VALU_DEP_1) | instskip(SKIP_1) | instid1(VALU_DEP_1)
	v_cvt_u32_f32_e32 v3, v3
	s_wait_alu 0xfffe
	v_mul_lo_u32 v4, s26, v3
	s_delay_alu instid0(VALU_DEP_1) | instskip(NEXT) | instid1(VALU_DEP_1)
	v_mul_hi_u32 v4, v3, v4
	v_add_nc_u32_e32 v3, v3, v4
	s_delay_alu instid0(VALU_DEP_1) | instskip(NEXT) | instid1(VALU_DEP_1)
	v_mul_hi_u32 v3, v9, v3
	v_mul_lo_u32 v4, v3, s24
	v_add_nc_u32_e32 v8, 1, v3
	s_delay_alu instid0(VALU_DEP_2) | instskip(NEXT) | instid1(VALU_DEP_1)
	v_sub_nc_u32_e32 v4, v9, v4
	v_subrev_nc_u32_e32 v11, s24, v4
	v_cmp_le_u32_e32 vcc_lo, s24, v4
	s_wait_alu 0xfffd
	s_delay_alu instid0(VALU_DEP_2) | instskip(NEXT) | instid1(VALU_DEP_1)
	v_dual_cndmask_b32 v4, v4, v11 :: v_dual_cndmask_b32 v3, v3, v8
	v_cmp_le_u32_e32 vcc_lo, s24, v4
	s_delay_alu instid0(VALU_DEP_2) | instskip(SKIP_2) | instid1(VALU_DEP_2)
	v_add_nc_u32_e32 v8, 1, v3
	v_mov_b32_e32 v4, v7
	s_wait_alu 0xfffd
	v_cndmask_b32_e32 v3, v3, v8, vcc_lo
.LBB0_6:                                ;   in Loop: Header=BB0_2 Depth=1
	s_wait_alu 0xfffe
	s_or_b32 exec_lo, exec_lo, s2
	v_mul_lo_u32 v8, v4, s24
	s_delay_alu instid0(VALU_DEP_2)
	v_mul_lo_u32 v13, v3, s25
	s_load_b64 s[26:27], s[18:19], 0x0
	v_mad_co_u64_u32 v[11:12], null, v3, s24, 0
	s_load_b64 s[24:25], s[16:17], 0x0
	s_add_nc_u64 s[20:21], s[20:21], 1
	s_add_nc_u64 s[16:17], s[16:17], 8
	s_wait_alu 0xfffe
	v_cmp_ge_u64_e64 s2, s[20:21], s[10:11]
	s_add_nc_u64 s[18:19], s[18:19], 8
	s_add_nc_u64 s[22:23], s[22:23], 8
	v_add3_u32 v8, v12, v13, v8
	v_sub_co_u32 v9, vcc_lo, v9, v11
	s_wait_alu 0xfffd
	s_delay_alu instid0(VALU_DEP_2) | instskip(SKIP_2) | instid1(VALU_DEP_1)
	v_sub_co_ci_u32_e32 v8, vcc_lo, v10, v8, vcc_lo
	s_and_b32 vcc_lo, exec_lo, s2
	s_wait_kmcnt 0x0
	v_mul_lo_u32 v10, s26, v8
	v_mul_lo_u32 v11, s27, v9
	v_mad_co_u64_u32 v[5:6], null, s26, v9, v[5:6]
	v_mul_lo_u32 v8, s24, v8
	v_mul_lo_u32 v12, s25, v9
	v_mad_co_u64_u32 v[1:2], null, s24, v9, v[1:2]
	s_delay_alu instid0(VALU_DEP_4) | instskip(NEXT) | instid1(VALU_DEP_2)
	v_add3_u32 v6, v11, v6, v10
	v_add3_u32 v2, v12, v2, v8
	s_wait_alu 0xfffe
	s_cbranch_vccnz .LBB0_9
; %bb.7:                                ;   in Loop: Header=BB0_2 Depth=1
	v_dual_mov_b32 v10, v4 :: v_dual_mov_b32 v9, v3
	s_branch .LBB0_2
.LBB0_8:
	v_dual_mov_b32 v1, v5 :: v_dual_mov_b32 v2, v6
	v_dual_mov_b32 v3, v9 :: v_dual_mov_b32 v4, v10
.LBB0_9:
	s_load_b64 s[0:1], s[0:1], 0x28
	v_mul_hi_u32 v68, 0x1e573ad, v0
	s_lshl_b64 s[10:11], s[10:11], 3
                                        ; implicit-def: $vgpr15
	s_wait_kmcnt 0x0
	v_cmp_gt_u64_e32 vcc_lo, s[0:1], v[3:4]
	v_cmp_le_u64_e64 s0, s[0:1], v[3:4]
	s_delay_alu instid0(VALU_DEP_1)
	s_and_saveexec_b32 s1, s0
	s_wait_alu 0xfffe
	s_xor_b32 s0, exec_lo, s1
; %bb.10:
	v_mul_u32_u24_e32 v5, 0x87, v68
                                        ; implicit-def: $vgpr68
	s_delay_alu instid0(VALU_DEP_1)
	v_sub_nc_u32_e32 v15, v0, v5
                                        ; implicit-def: $vgpr0
                                        ; implicit-def: $vgpr5_vgpr6
; %bb.11:
	s_wait_alu 0xfffe
	s_or_saveexec_b32 s1, s0
	s_add_nc_u64 s[2:3], s[14:15], s[10:11]
                                        ; implicit-def: $vgpr11
                                        ; implicit-def: $vgpr16
                                        ; implicit-def: $vgpr23
                                        ; implicit-def: $vgpr26
                                        ; implicit-def: $vgpr17
                                        ; implicit-def: $vgpr13
                                        ; implicit-def: $vgpr24
                                        ; implicit-def: $vgpr21
                                        ; implicit-def: $vgpr18
                                        ; implicit-def: $vgpr14
                                        ; implicit-def: $vgpr25
                                        ; implicit-def: $vgpr20
                                        ; implicit-def: $vgpr19
                                        ; implicit-def: $vgpr12
                                        ; implicit-def: $vgpr27
                                        ; implicit-def: $vgpr22
                                        ; implicit-def: $vgpr10
                                        ; implicit-def: $vgpr8
                                        ; implicit-def: $vgpr9
                                        ; implicit-def: $vgpr7
                                        ; implicit-def: $vgpr46
                                        ; implicit-def: $vgpr42
                                        ; implicit-def: $vgpr61
                                        ; implicit-def: $vgpr55
                                        ; implicit-def: $vgpr47
                                        ; implicit-def: $vgpr41
                                        ; implicit-def: $vgpr62
                                        ; implicit-def: $vgpr51
                                        ; implicit-def: $vgpr48
                                        ; implicit-def: $vgpr40
                                        ; implicit-def: $vgpr63
                                        ; implicit-def: $vgpr50
                                        ; implicit-def: $vgpr49
                                        ; implicit-def: $vgpr39
                                        ; implicit-def: $vgpr64
                                        ; implicit-def: $vgpr53
                                        ; implicit-def: $vgpr44
                                        ; implicit-def: $vgpr29
                                        ; implicit-def: $vgpr30
                                        ; implicit-def: $vgpr28
                                        ; implicit-def: $vgpr38
                                        ; implicit-def: $vgpr35
                                        ; implicit-def: $vgpr60
                                        ; implicit-def: $vgpr59
                                        ; implicit-def: $vgpr45
                                        ; implicit-def: $vgpr34
                                        ; implicit-def: $vgpr65
                                        ; implicit-def: $vgpr57
                                        ; implicit-def: $vgpr52
                                        ; implicit-def: $vgpr33
                                        ; implicit-def: $vgpr66
                                        ; implicit-def: $vgpr56
                                        ; implicit-def: $vgpr54
                                        ; implicit-def: $vgpr32
                                        ; implicit-def: $vgpr67
                                        ; implicit-def: $vgpr58
                                        ; implicit-def: $vgpr37
                                        ; implicit-def: $vgpr31
                                        ; implicit-def: $vgpr43
                                        ; implicit-def: $vgpr36
	s_wait_alu 0xfffe
	s_xor_b32 exec_lo, exec_lo, s1
	s_cbranch_execz .LBB0_13
; %bb.12:
	s_add_nc_u64 s[10:11], s[12:13], s[10:11]
	v_lshlrev_b64_e32 v[5:6], 2, v[5:6]
	s_load_b64 s[10:11], s[10:11], 0x0
	s_wait_kmcnt 0x0
	v_mul_lo_u32 v9, s11, v3
	v_mul_lo_u32 v10, s10, v4
	v_mad_co_u64_u32 v[7:8], null, s10, v3, 0
	s_delay_alu instid0(VALU_DEP_1) | instskip(SKIP_1) | instid1(VALU_DEP_2)
	v_add3_u32 v8, v8, v10, v9
	v_mul_u32_u24_e32 v9, 0x87, v68
	v_lshlrev_b64_e32 v[7:8], 2, v[7:8]
	s_delay_alu instid0(VALU_DEP_2) | instskip(NEXT) | instid1(VALU_DEP_2)
	v_sub_nc_u32_e32 v15, v0, v9
	v_add_co_u32 v0, s0, s4, v7
	s_wait_alu 0xf1ff
	s_delay_alu instid0(VALU_DEP_3) | instskip(NEXT) | instid1(VALU_DEP_3)
	v_add_co_ci_u32_e64 v7, s0, s5, v8, s0
	v_lshlrev_b32_e32 v8, 2, v15
	s_delay_alu instid0(VALU_DEP_3) | instskip(SKIP_1) | instid1(VALU_DEP_3)
	v_add_co_u32 v0, s0, v0, v5
	s_wait_alu 0xf1ff
	v_add_co_ci_u32_e64 v6, s0, v7, v6, s0
	s_delay_alu instid0(VALU_DEP_2) | instskip(SKIP_1) | instid1(VALU_DEP_2)
	v_add_co_u32 v5, s0, v0, v8
	s_wait_alu 0xf1ff
	v_add_co_ci_u32_e64 v6, s0, 0, v6, s0
	s_clause 0x1d
	global_load_b32 v31, v[5:6], off offset:1620
	global_load_b32 v58, v[5:6], off offset:3240
	global_load_b32 v36, v[5:6], off
	global_load_b32 v32, v[5:6], off offset:4860
	global_load_b32 v56, v[5:6], off offset:6480
	global_load_b32 v33, v[5:6], off offset:8100
	global_load_b32 v57, v[5:6], off offset:9720
	global_load_b32 v34, v[5:6], off offset:11340
	global_load_b32 v59, v[5:6], off offset:12960
	global_load_b32 v35, v[5:6], off offset:14580
	global_load_b32 v28, v[5:6], off offset:540
	global_load_b32 v29, v[5:6], off offset:2160
	global_load_b32 v53, v[5:6], off offset:3780
	global_load_b32 v39, v[5:6], off offset:5400
	global_load_b32 v50, v[5:6], off offset:7020
	global_load_b32 v40, v[5:6], off offset:8640
	global_load_b32 v51, v[5:6], off offset:10260
	global_load_b32 v41, v[5:6], off offset:11880
	global_load_b32 v55, v[5:6], off offset:13500
	global_load_b32 v42, v[5:6], off offset:15120
	global_load_b32 v8, v[5:6], off offset:2700
	global_load_b32 v7, v[5:6], off offset:1080
	global_load_b32 v20, v[5:6], off offset:7560
	global_load_b32 v12, v[5:6], off offset:5940
	global_load_b32 v22, v[5:6], off offset:4320
	global_load_b32 v13, v[5:6], off offset:12420
	global_load_b32 v21, v[5:6], off offset:10800
	global_load_b32 v14, v[5:6], off offset:9180
	global_load_b32 v16, v[5:6], off offset:15660
	global_load_b32 v26, v[5:6], off offset:14040
	s_wait_loadcnt 0x1d
	v_lshrrev_b32_e32 v37, 16, v31
	s_wait_loadcnt 0x1c
	v_lshrrev_b32_e32 v67, 16, v58
	s_wait_loadcnt 0x1b
	v_lshrrev_b32_e32 v43, 16, v36
	s_wait_loadcnt 0x1a
	v_lshrrev_b32_e32 v54, 16, v32
	s_wait_loadcnt 0x19
	v_lshrrev_b32_e32 v66, 16, v56
	s_wait_loadcnt 0x18
	v_lshrrev_b32_e32 v52, 16, v33
	s_wait_loadcnt 0x17
	v_lshrrev_b32_e32 v65, 16, v57
	s_wait_loadcnt 0x16
	v_lshrrev_b32_e32 v45, 16, v34
	s_wait_loadcnt 0x15
	v_lshrrev_b32_e32 v60, 16, v59
	s_wait_loadcnt 0x14
	v_lshrrev_b32_e32 v38, 16, v35
	s_wait_loadcnt 0x13
	v_lshrrev_b32_e32 v30, 16, v28
	s_wait_loadcnt 0x12
	v_lshrrev_b32_e32 v44, 16, v29
	s_wait_loadcnt 0x11
	v_lshrrev_b32_e32 v64, 16, v53
	s_wait_loadcnt 0x10
	v_lshrrev_b32_e32 v49, 16, v39
	s_wait_loadcnt 0xf
	v_lshrrev_b32_e32 v63, 16, v50
	s_wait_loadcnt 0xe
	v_lshrrev_b32_e32 v48, 16, v40
	s_wait_loadcnt 0xd
	v_lshrrev_b32_e32 v62, 16, v51
	s_wait_loadcnt 0xc
	v_lshrrev_b32_e32 v47, 16, v41
	s_wait_loadcnt 0xb
	v_lshrrev_b32_e32 v61, 16, v55
	s_wait_loadcnt 0xa
	v_lshrrev_b32_e32 v46, 16, v42
	s_wait_loadcnt 0x9
	v_lshrrev_b32_e32 v10, 16, v8
	s_wait_loadcnt 0x8
	v_lshrrev_b32_e32 v9, 16, v7
	s_wait_loadcnt 0x7
	v_lshrrev_b32_e32 v25, 16, v20
	s_wait_loadcnt 0x6
	v_lshrrev_b32_e32 v19, 16, v12
	s_wait_loadcnt 0x5
	v_lshrrev_b32_e32 v27, 16, v22
	s_wait_loadcnt 0x4
	v_lshrrev_b32_e32 v17, 16, v13
	s_wait_loadcnt 0x3
	v_lshrrev_b32_e32 v24, 16, v21
	s_wait_loadcnt 0x2
	v_lshrrev_b32_e32 v18, 16, v14
	s_wait_loadcnt 0x1
	v_lshrrev_b32_e32 v11, 16, v16
	s_wait_loadcnt 0x0
	v_lshrrev_b32_e32 v23, 16, v26
.LBB0_13:
	s_or_b32 exec_lo, exec_lo, s1
	v_add_f16_e32 v5, v58, v36
	v_add_f16_e32 v0, v57, v56
	v_sub_f16_e32 v6, v67, v60
	v_add_f16_e32 v71, v59, v58
	v_sub_f16_e32 v68, v66, v65
	v_add_f16_e32 v5, v56, v5
	v_fma_f16 v69, -0.5, v0, v36
	v_sub_f16_e32 v0, v58, v56
	v_sub_f16_e32 v70, v59, v57
	v_fmac_f16_e32 v36, -0.5, v71
	v_add_f16_e32 v5, v57, v5
	v_fmamk_f16 v72, v6, 0xbb9c, v69
	v_fmac_f16_e32 v69, 0x3b9c, v6
	v_sub_f16_e32 v73, v56, v58
	v_add_f16_e32 v0, v70, v0
	v_add_f16_e32 v74, v59, v5
	;; [unrolled: 1-line block ×3, first 2 shown]
	v_fmac_f16_e32 v72, 0xb8b4, v68
	v_sub_f16_e32 v70, v57, v59
	v_fmamk_f16 v71, v68, 0x3b9c, v36
	v_fmac_f16_e32 v69, 0x38b4, v68
	v_add_f16_e32 v75, v65, v66
	v_fmac_f16_e32 v36, 0xbb9c, v68
	v_add_f16_e32 v5, v66, v5
	v_fmac_f16_e32 v72, 0x34f2, v0
	v_fmac_f16_e32 v71, 0xb8b4, v6
	v_add_f16_e32 v70, v70, v73
	v_fma_f16 v68, -0.5, v75, v43
	v_sub_f16_e32 v58, v58, v59
	v_fmac_f16_e32 v69, 0x34f2, v0
	v_fmac_f16_e32 v36, 0x38b4, v6
	v_add_f16_e32 v0, v65, v5
	v_add_f16_e32 v5, v60, v67
	v_sub_f16_e32 v6, v56, v57
	v_sub_f16_e32 v56, v67, v66
	;; [unrolled: 1-line block ×3, first 2 shown]
	v_fmac_f16_e32 v71, 0x34f2, v70
	v_fmamk_f16 v73, v58, 0x3b9c, v68
	v_fmac_f16_e32 v36, 0x34f2, v70
	v_fmac_f16_e32 v43, -0.5, v5
	v_add_f16_e32 v70, v60, v0
	v_add_f16_e32 v0, v57, v56
	v_fmac_f16_e32 v68, 0xbb9c, v58
	v_sub_f16_e32 v5, v66, v67
	v_sub_f16_e32 v56, v65, v60
	v_add_f16_e32 v57, v32, v31
	v_fmac_f16_e32 v73, 0x38b4, v6
	v_fmamk_f16 v75, v6, 0xbb9c, v43
	v_fmac_f16_e32 v68, 0xb8b4, v6
	v_add_f16_e32 v5, v56, v5
	v_fmac_f16_e32 v43, 0x3b9c, v6
	v_add_f16_e32 v6, v33, v57
	v_add_f16_e32 v56, v34, v33
	v_fmac_f16_e32 v73, 0x34f2, v0
	v_fmac_f16_e32 v75, 0x38b4, v58
	;; [unrolled: 1-line block ×4, first 2 shown]
	v_add_f16_e32 v0, v34, v6
	v_fma_f16 v56, -0.5, v56, v31
	v_add_f16_e32 v6, v35, v32
	v_sub_f16_e32 v57, v54, v38
	v_fmac_f16_e32 v75, 0x34f2, v5
	v_fmac_f16_e32 v43, 0x34f2, v5
	v_add_f16_e32 v58, v35, v0
	v_sub_f16_e32 v0, v52, v45
	v_fmac_f16_e32 v31, -0.5, v6
	v_fmamk_f16 v59, v57, 0xbb9c, v56
	v_sub_f16_e32 v5, v32, v33
	v_sub_f16_e32 v6, v35, v34
	v_fmac_f16_e32 v56, 0x3b9c, v57
	v_fmamk_f16 v60, v0, 0x3b9c, v31
	v_fmac_f16_e32 v59, 0xb8b4, v0
	v_sub_f16_e32 v65, v33, v32
	v_add_f16_e32 v5, v6, v5
	v_fmac_f16_e32 v56, 0x38b4, v0
	v_sub_f16_e32 v66, v34, v35
	v_fmac_f16_e32 v31, 0xbb9c, v0
	v_add_f16_e32 v0, v45, v52
	v_fmac_f16_e32 v59, 0x34f2, v5
	v_fmac_f16_e32 v56, 0x34f2, v5
	v_add_f16_e32 v5, v38, v54
	v_fmac_f16_e32 v60, 0xb8b4, v57
	v_add_f16_e32 v6, v66, v65
	v_fmac_f16_e32 v31, 0x38b4, v57
	v_fma_f16 v57, -0.5, v0, v37
	v_sub_f16_e32 v0, v32, v35
	v_add_f16_e32 v32, v54, v37
	v_sub_f16_e32 v33, v33, v34
	v_fmac_f16_e32 v37, -0.5, v5
	v_fmac_f16_e32 v60, 0x34f2, v6
	v_fmac_f16_e32 v31, 0x34f2, v6
	v_fmamk_f16 v34, v0, 0x3b9c, v57
	v_sub_f16_e32 v5, v54, v52
	v_sub_f16_e32 v6, v38, v45
	v_fmamk_f16 v35, v33, 0xbb9c, v37
	v_sub_f16_e32 v54, v52, v54
	v_sub_f16_e32 v65, v45, v38
	v_fmac_f16_e32 v37, 0x3b9c, v33
	v_fmac_f16_e32 v34, 0x38b4, v33
	v_add_f16_e32 v5, v6, v5
	v_fmac_f16_e32 v35, 0x38b4, v0
	v_add_f16_e32 v6, v65, v54
	v_fmac_f16_e32 v37, 0xb8b4, v0
	v_fmac_f16_e32 v57, 0xbb9c, v0
	v_add_f16_e32 v0, v52, v32
	v_fmac_f16_e32 v34, 0x34f2, v5
	v_fmac_f16_e32 v35, 0x34f2, v6
	v_fmac_f16_e32 v37, 0x34f2, v6
	v_fmac_f16_e32 v57, 0xb8b4, v33
	v_add_f16_e32 v0, v45, v0
	v_mul_f16_e32 v45, 0xb8b4, v34
	v_mul_f16_e32 v65, 0xbb9c, v35
	;; [unrolled: 1-line block ×3, first 2 shown]
	v_fmac_f16_e32 v57, 0x34f2, v5
	v_mul_f16_e32 v78, 0xb4f2, v37
	v_fmac_f16_e32 v45, 0x3a79, v59
	v_fmac_f16_e32 v65, 0x34f2, v60
	;; [unrolled: 1-line block ×3, first 2 shown]
	v_mul_f16_e32 v67, 0xb8b4, v57
	v_mul_f16_e32 v79, 0xba79, v57
	v_add_f16_e32 v37, v51, v50
	v_add_f16_e32 v38, v38, v0
	;; [unrolled: 1-line block ×6, first 2 shown]
	v_fmac_f16_e32 v67, 0xba79, v56
	v_mul_f16_e32 v76, 0x38b4, v59
	v_mul_f16_e32 v77, 0x3b9c, v60
	v_fmac_f16_e32 v79, 0x38b4, v56
	v_sub_f16_e32 v56, v74, v58
	v_sub_f16_e32 v57, v72, v45
	;; [unrolled: 1-line block ×4, first 2 shown]
	v_add_f16_e32 v45, v53, v28
	v_fma_f16 v65, -0.5, v37, v28
	v_sub_f16_e32 v66, v64, v61
	v_add_f16_e32 v72, v55, v53
	v_add_f16_e32 v54, v69, v67
	v_fmac_f16_e32 v76, 0x3a79, v34
	v_fmac_f16_e32 v78, 0x3b9c, v31
	v_add_f16_e32 v31, v38, v70
	v_sub_f16_e32 v59, v69, v67
	v_sub_f16_e32 v36, v70, v38
	v_add_f16_e32 v45, v50, v45
	v_fmamk_f16 v67, v66, 0xbb9c, v65
	v_sub_f16_e32 v69, v63, v62
	v_sub_f16_e32 v70, v53, v50
	;; [unrolled: 1-line block ×3, first 2 shown]
	v_fmac_f16_e32 v28, -0.5, v72
	v_fmac_f16_e32 v65, 0x3b9c, v66
	v_add_f16_e32 v74, v64, v30
	v_fmac_f16_e32 v77, 0x34f2, v35
	v_add_f16_e32 v32, v73, v76
	v_sub_f16_e32 v37, v73, v76
	v_add_f16_e32 v73, v51, v45
	v_fmac_f16_e32 v67, 0xb8b4, v69
	v_add_f16_e32 v70, v71, v70
	v_fmamk_f16 v71, v69, 0x3b9c, v28
	v_fmac_f16_e32 v65, 0x38b4, v69
	v_fmac_f16_e32 v28, 0xbb9c, v69
	v_add_f16_e32 v69, v63, v74
	v_add_f16_e32 v34, v75, v77
	;; [unrolled: 1-line block ×3, first 2 shown]
	v_sub_f16_e32 v38, v75, v77
	v_sub_f16_e32 v45, v68, v79
	v_add_f16_e32 v68, v55, v73
	v_sub_f16_e32 v72, v50, v53
	v_sub_f16_e32 v73, v51, v55
	v_add_f16_e32 v75, v62, v63
	v_sub_f16_e32 v53, v53, v55
	v_add_f16_e32 v55, v62, v69
	v_add_f16_e32 v69, v61, v64
	;; [unrolled: 1-line block ×3, first 2 shown]
	v_fma_f16 v73, -0.5, v75, v30
	v_sub_f16_e32 v50, v50, v51
	v_fmac_f16_e32 v67, 0x34f2, v70
	v_fmac_f16_e32 v30, -0.5, v69
	v_fmac_f16_e32 v71, 0xb8b4, v66
	v_fmac_f16_e32 v65, 0x34f2, v70
	;; [unrolled: 1-line block ×3, first 2 shown]
	v_fmamk_f16 v66, v53, 0x3b9c, v73
	v_sub_f16_e32 v51, v64, v63
	v_sub_f16_e32 v70, v61, v62
	v_add_f16_e32 v55, v61, v55
	v_fmac_f16_e32 v73, 0xbb9c, v53
	v_fmamk_f16 v69, v50, 0xbb9c, v30
	v_sub_f16_e32 v63, v63, v64
	v_sub_f16_e32 v61, v62, v61
	v_add_f16_e32 v62, v39, v29
	v_fmac_f16_e32 v30, 0x3b9c, v50
	v_fmac_f16_e32 v66, 0x38b4, v50
	v_add_f16_e32 v51, v70, v51
	v_fmac_f16_e32 v73, 0xb8b4, v50
	v_fmac_f16_e32 v69, 0x38b4, v53
	v_add_f16_e32 v61, v61, v63
	v_add_f16_e32 v50, v40, v62
	;; [unrolled: 1-line block ×3, first 2 shown]
	v_fmac_f16_e32 v30, 0xb8b4, v53
	v_add_f16_e32 v53, v42, v39
	v_fmac_f16_e32 v66, 0x34f2, v51
	v_fmac_f16_e32 v73, 0x34f2, v51
	;; [unrolled: 1-line block ×3, first 2 shown]
	v_fma_f16 v51, -0.5, v62, v29
	v_sub_f16_e32 v62, v49, v46
	v_fmac_f16_e32 v30, 0x34f2, v61
	v_sub_f16_e32 v61, v48, v47
	v_fmac_f16_e32 v29, -0.5, v53
	v_fmac_f16_e32 v71, 0x34f2, v72
	v_fmamk_f16 v53, v62, 0xbb9c, v51
	v_fmac_f16_e32 v51, 0x3b9c, v62
	v_fmac_f16_e32 v28, 0x34f2, v72
	v_fmamk_f16 v70, v61, 0x3b9c, v29
	v_fmac_f16_e32 v29, 0xbb9c, v61
	v_add_f16_e32 v50, v41, v50
	v_sub_f16_e32 v63, v39, v40
	v_sub_f16_e32 v64, v42, v41
	;; [unrolled: 1-line block ×4, first 2 shown]
	v_fmac_f16_e32 v53, 0xb8b4, v61
	v_fmac_f16_e32 v51, 0x38b4, v61
	;; [unrolled: 1-line block ×3, first 2 shown]
	v_add_f16_e32 v61, v47, v48
	v_fmac_f16_e32 v29, 0x38b4, v62
	v_add_f16_e32 v62, v46, v49
	v_add_f16_e32 v50, v42, v50
	;; [unrolled: 1-line block ×4, first 2 shown]
	v_fma_f16 v61, -0.5, v61, v44
	v_sub_f16_e32 v39, v39, v42
	v_add_f16_e32 v42, v49, v44
	v_sub_f16_e32 v40, v40, v41
	v_fmac_f16_e32 v44, -0.5, v62
	v_fmac_f16_e32 v70, 0x34f2, v64
	v_fmac_f16_e32 v29, 0x34f2, v64
	v_sub_f16_e32 v62, v49, v48
	v_sub_f16_e32 v49, v48, v49
	v_fmamk_f16 v64, v40, 0xbb9c, v44
	v_sub_f16_e32 v72, v47, v46
	v_fmac_f16_e32 v53, 0x34f2, v63
	v_fmac_f16_e32 v51, 0x34f2, v63
	v_fmamk_f16 v41, v39, 0x3b9c, v61
	v_sub_f16_e32 v63, v46, v47
	v_fmac_f16_e32 v64, 0x38b4, v39
	v_add_f16_e32 v49, v72, v49
	v_fmac_f16_e32 v44, 0x3b9c, v40
	v_fmac_f16_e32 v41, 0x38b4, v40
	v_add_f16_e32 v62, v63, v62
	v_fmac_f16_e32 v61, 0xbb9c, v39
	v_fmac_f16_e32 v64, 0x34f2, v49
	;; [unrolled: 1-line block ×3, first 2 shown]
	v_add_f16_e32 v39, v48, v42
	v_fmac_f16_e32 v41, 0x34f2, v62
	v_fmac_f16_e32 v61, 0xb8b4, v40
	v_mul_f16_e32 v42, 0xbb9c, v64
	v_fmac_f16_e32 v44, 0x34f2, v49
	v_add_f16_e32 v39, v47, v39
	v_mul_f16_e32 v40, 0xb8b4, v41
	v_fmac_f16_e32 v61, 0x34f2, v62
	v_fmac_f16_e32 v42, 0x34f2, v70
	v_mul_f16_e32 v70, 0x3b9c, v70
	v_mul_f16_e32 v47, 0xbb9c, v44
	v_add_f16_e32 v39, v46, v39
	v_fmac_f16_e32 v40, 0x3a79, v53
	v_mul_f16_e32 v46, 0xb8b4, v61
	v_mul_f16_e32 v53, 0x38b4, v53
	v_fmac_f16_e32 v70, 0x34f2, v64
	v_fmac_f16_e32 v47, 0xb4f2, v29
	v_add_f16_e32 v48, v50, v68
	v_add_f16_e32 v49, v67, v40
	v_fmac_f16_e32 v46, 0xba79, v51
	v_mul_f16_e32 v44, 0xb4f2, v44
	v_mul_f16_e32 v61, 0xba79, v61
	v_fmac_f16_e32 v53, 0x3a79, v41
	v_add_f16_e32 v74, v69, v70
	v_sub_f16_e32 v41, v68, v50
	v_sub_f16_e32 v40, v67, v40
	v_add_f16_e32 v50, v21, v20
	v_sub_f16_e32 v67, v69, v70
	v_add_f16_e32 v69, v26, v22
	v_add_f16_e32 v63, v28, v47
	;; [unrolled: 1-line block ×3, first 2 shown]
	v_fmac_f16_e32 v44, 0x3b9c, v29
	v_fmac_f16_e32 v61, 0x38b4, v51
	v_add_f16_e32 v29, v39, v55
	v_add_f16_e32 v64, v66, v53
	v_sub_f16_e32 v28, v28, v47
	v_sub_f16_e32 v46, v65, v46
	v_add_f16_e32 v47, v22, v7
	v_fma_f16 v50, -0.5, v50, v7
	v_sub_f16_e32 v51, v27, v23
	v_sub_f16_e32 v65, v55, v39
	;; [unrolled: 1-line block ×6, first 2 shown]
	v_fmac_f16_e32 v7, -0.5, v69
	v_add_f16_e32 v75, v30, v44
	v_add_f16_e32 v39, v20, v47
	v_fmamk_f16 v47, v51, 0xbb9c, v50
	v_sub_f16_e32 v30, v30, v44
	v_add_f16_e32 v44, v68, v55
	v_fmac_f16_e32 v50, 0x3b9c, v51
	v_fmamk_f16 v55, v53, 0x3b9c, v7
	v_add_f16_e32 v70, v27, v9
	v_fmac_f16_e32 v7, 0xbb9c, v53
	v_add_f16_e32 v62, v71, v42
	v_sub_f16_e32 v42, v71, v42
	v_add_f16_e32 v39, v21, v39
	v_fmac_f16_e32 v47, 0xb8b4, v53
	v_sub_f16_e32 v68, v20, v22
	v_sub_f16_e32 v69, v21, v26
	v_fmac_f16_e32 v50, 0x38b4, v53
	v_add_f16_e32 v71, v24, v25
	v_fmac_f16_e32 v55, 0xb8b4, v51
	v_add_f16_e32 v53, v25, v70
	;; [unrolled: 2-line block ×3, first 2 shown]
	v_add_f16_e32 v39, v26, v39
	v_add_f16_e32 v68, v69, v68
	v_fma_f16 v69, -0.5, v71, v9
	v_sub_f16_e32 v22, v22, v26
	v_add_f16_e32 v26, v24, v53
	v_sub_f16_e32 v20, v20, v21
	v_fmac_f16_e32 v9, -0.5, v51
	v_fmac_f16_e32 v47, 0x34f2, v44
	v_fmac_f16_e32 v50, 0x34f2, v44
	v_fmamk_f16 v44, v22, 0x3b9c, v69
	v_sub_f16_e32 v21, v27, v25
	v_sub_f16_e32 v53, v23, v24
	v_add_f16_e32 v26, v23, v26
	v_fmac_f16_e32 v69, 0xbb9c, v22
	v_fmamk_f16 v51, v20, 0xbb9c, v9
	v_sub_f16_e32 v25, v25, v27
	v_sub_f16_e32 v23, v24, v23
	v_add_f16_e32 v24, v12, v8
	v_fmac_f16_e32 v9, 0x3b9c, v20
	v_fmac_f16_e32 v44, 0x38b4, v20
	v_add_f16_e32 v21, v53, v21
	v_fmac_f16_e32 v69, 0xb8b4, v20
	v_fmac_f16_e32 v51, 0x38b4, v22
	v_add_f16_e32 v23, v23, v25
	v_add_f16_e32 v20, v14, v24
	;; [unrolled: 1-line block ×3, first 2 shown]
	v_fmac_f16_e32 v9, 0xb8b4, v22
	v_add_f16_e32 v22, v16, v12
	v_fmac_f16_e32 v44, 0x34f2, v21
	v_fmac_f16_e32 v69, 0x34f2, v21
	;; [unrolled: 1-line block ×3, first 2 shown]
	v_fma_f16 v21, -0.5, v24, v8
	v_sub_f16_e32 v24, v19, v11
	v_fmac_f16_e32 v9, 0x34f2, v23
	v_sub_f16_e32 v23, v18, v17
	v_fmac_f16_e32 v8, -0.5, v22
	v_fmac_f16_e32 v55, 0x34f2, v68
	v_fmamk_f16 v22, v24, 0xbb9c, v21
	v_fmac_f16_e32 v21, 0x3b9c, v24
	v_fmac_f16_e32 v7, 0x34f2, v68
	v_fmamk_f16 v53, v23, 0x3b9c, v8
	v_fmac_f16_e32 v8, 0xbb9c, v23
	v_add_f16_e32 v20, v13, v20
	v_sub_f16_e32 v25, v12, v14
	v_sub_f16_e32 v27, v16, v13
	;; [unrolled: 1-line block ×4, first 2 shown]
	v_fmac_f16_e32 v22, 0xb8b4, v23
	v_fmac_f16_e32 v21, 0x38b4, v23
	;; [unrolled: 1-line block ×3, first 2 shown]
	v_add_f16_e32 v23, v17, v18
	v_fmac_f16_e32 v8, 0x38b4, v24
	v_add_f16_e32 v24, v11, v19
	v_add_f16_e32 v20, v16, v20
	;; [unrolled: 1-line block ×4, first 2 shown]
	v_fma_f16 v23, -0.5, v23, v10
	v_sub_f16_e32 v12, v12, v16
	v_add_f16_e32 v16, v19, v10
	v_sub_f16_e32 v13, v14, v13
	v_fmac_f16_e32 v10, -0.5, v24
	v_fmac_f16_e32 v53, 0x34f2, v27
	v_fmac_f16_e32 v8, 0x34f2, v27
	v_sub_f16_e32 v24, v19, v18
	v_sub_f16_e32 v19, v18, v19
	v_fmamk_f16 v27, v13, 0xbb9c, v10
	v_sub_f16_e32 v68, v17, v11
	v_fmac_f16_e32 v10, 0x3b9c, v13
	v_fmac_f16_e32 v22, 0x34f2, v25
	;; [unrolled: 1-line block ×3, first 2 shown]
	v_fmamk_f16 v14, v12, 0x3b9c, v23
	v_sub_f16_e32 v25, v11, v17
	v_add_f16_e32 v19, v68, v19
	v_fmac_f16_e32 v10, 0xb8b4, v12
	v_fmac_f16_e32 v23, 0xbb9c, v12
	;; [unrolled: 1-line block ×3, first 2 shown]
	v_add_f16_e32 v24, v25, v24
	v_add_f16_e32 v12, v18, v16
	v_fmac_f16_e32 v10, 0x34f2, v19
	v_fmac_f16_e32 v23, 0xb8b4, v13
	v_fmac_f16_e32 v14, 0x38b4, v13
	v_fmac_f16_e32 v27, 0x34f2, v19
	v_add_f16_e32 v12, v17, v12
	v_mul_f16_e32 v17, 0xbb9c, v10
	v_fmac_f16_e32 v23, 0x34f2, v24
	v_fmac_f16_e32 v14, 0x34f2, v24
	v_mul_f16_e32 v10, 0xb4f2, v10
	v_add_f16_e32 v11, v11, v12
	v_fmac_f16_e32 v17, 0xb4f2, v8
	v_mul_f16_e32 v12, 0xb8b4, v23
	v_mul_f16_e32 v23, 0xba79, v23
	;; [unrolled: 1-line block ×4, first 2 shown]
	v_add_f16_e32 v25, v7, v17
	v_fmac_f16_e32 v12, 0xba79, v21
	v_fmac_f16_e32 v23, 0x38b4, v21
	v_add_f16_e32 v21, v11, v26
	v_sub_f16_e32 v7, v7, v17
	v_sub_f16_e32 v17, v26, v11
	v_mul_u32_u24_e32 v11, 10, v15
	v_fmac_f16_e32 v10, 0x3b9c, v8
	v_add_f16_e32 v76, v73, v61
	v_sub_f16_e32 v61, v73, v61
	v_fmac_f16_e32 v13, 0x3a79, v22
	v_fmac_f16_e32 v16, 0x34f2, v53
	v_add_f16_e32 v73, v69, v23
	v_sub_f16_e32 v23, v69, v23
	v_lshl_add_u32 v69, v11, 1, 0
	v_pack_b32_f16 v6, v6, v52
	v_pack_b32_f16 v0, v0, v5
	v_add_f16_e32 v71, v9, v10
	v_sub_f16_e32 v26, v9, v10
	v_pack_b32_f16 v5, v57, v60
	v_pack_b32_f16 v9, v54, v56
	;; [unrolled: 1-line block ×4, first 2 shown]
	s_load_b64 s[2:3], s[2:3], 0x0
	v_add_f16_e32 v18, v20, v39
	v_add_f16_e32 v19, v47, v13
	;; [unrolled: 1-line block ×3, first 2 shown]
	v_mul_f16_e32 v22, 0x38b4, v22
	v_mul_f16_e32 v53, 0x3b9c, v53
	v_add_f16_e32 v68, v50, v12
	v_sub_f16_e32 v12, v50, v12
	ds_store_2addr_b32 v69, v0, v6 offset1:1
	ds_store_2addr_b32 v69, v9, v5 offset0:2 offset1:3
	ds_store_b32 v69, v10 offset:16
	ds_store_b32 v69, v28 offset:2716
	v_and_b32_e32 v6, 0xff, v15
	v_sub_f16_e32 v8, v39, v20
	v_sub_f16_e32 v13, v47, v13
	;; [unrolled: 1-line block ×3, first 2 shown]
	v_add_f16_e32 v35, v43, v78
	v_fmac_f16_e32 v22, 0x3a79, v14
	v_fmac_f16_e32 v53, 0x34f2, v27
	v_pack_b32_f16 v11, v62, v63
	v_add_nc_u32_e32 v63, 0x1518, v69
	v_pack_b32_f16 v24, v24, v25
	v_pack_b32_f16 v18, v18, v19
	;; [unrolled: 1-line block ×3, first 2 shown]
	v_mul_lo_u16 v12, 0xcd, v6
	v_add_nc_u32_e32 v19, 0x1520, v69
	v_pack_b32_f16 v13, v13, v16
	v_pack_b32_f16 v8, v68, v8
	v_sub_f16_e32 v43, v43, v78
	v_add_nc_u32_e32 v62, 0xa94, v69
	v_pack_b32_f16 v40, v40, v42
	v_pack_b32_f16 v41, v72, v41
	v_add_nc_u32_e32 v77, 0xa8c, v69
	v_pack_b32_f16 v39, v48, v49
	v_add_f16_e32 v27, v44, v22
	v_add_f16_e32 v70, v51, v53
	v_add_nc_u32_e32 v14, 0x87, v15
	ds_store_2addr_b32 v63, v18, v24 offset1:1
	ds_store_2addr_b32 v19, v8, v13 offset1:1
	;; [unrolled: 1-line block ×4, first 2 shown]
	ds_store_b32 v69, v0 offset:5416
	v_mad_i32_i24 v0, 0xffffffee, v15, v69
	v_pack_b32_f16 v13, v34, v35
	v_pack_b32_f16 v16, v31, v32
	v_lshrrev_b16 v12, 11, v12
	v_sub_f16_e32 v20, v44, v22
	v_sub_f16_e32 v22, v51, v53
	v_pack_b32_f16 v18, v37, v38
	v_pack_b32_f16 v24, v33, v36
	v_pack_b32_f16 v25, v43, v45
	v_pack_b32_f16 v30, v30, v61
	global_wb scope:SCOPE_SE
	s_wait_dscnt 0x0
	s_wait_kmcnt 0x0
	s_barrier_signal -1
	s_barrier_wait -1
	global_inv scope:SCOPE_SE
	ds_load_u16 v53, v0 offset:3780
	ds_load_u16 v49, v0 offset:4050
	ds_load_u16 v11, v0
	ds_load_u16 v10, v0 offset:270
	ds_load_u16 v9, v0 offset:540
	;; [unrolled: 1-line block ×27, first 2 shown]
	global_wb scope:SCOPE_SE
	s_wait_dscnt 0x0
	s_barrier_signal -1
	s_barrier_wait -1
	global_inv scope:SCOPE_SE
	v_mul_lo_u16 v33, v12, 10
	ds_store_2addr_b32 v69, v16, v13 offset1:1
	ds_store_2addr_b32 v69, v24, v18 offset0:2 offset1:3
	ds_store_b32 v69, v25 offset:16
	ds_store_b32 v69, v30 offset:2716
	v_pack_b32_f16 v16, v70, v71
	v_pack_b32_f16 v18, v21, v27
	v_and_b32_e32 v21, 0xffff, v14
	v_pack_b32_f16 v20, v20, v22
	v_pack_b32_f16 v17, v73, v17
	v_sub_nc_u16 v13, v15, v33
	ds_store_2addr_b32 v63, v18, v16 offset1:1
	ds_store_2addr_b32 v19, v17, v20 offset1:1
	v_mul_u32_u24_e32 v16, 0xcccd, v21
	v_and_b32_e32 v13, 0xff, v13
	v_pack_b32_f16 v31, v66, v67
	v_pack_b32_f16 v32, v76, v65
	v_add_nc_u32_e32 v19, 0x10e, v15
	v_lshrrev_b32_e32 v20, 19, v16
	v_lshlrev_b32_e32 v17, 4, v13
	v_pack_b32_f16 v28, v74, v75
	v_pack_b32_f16 v29, v29, v64
	;; [unrolled: 1-line block ×3, first 2 shown]
	v_mul_lo_u16 v16, v20, 10
	ds_store_2addr_b32 v62, v32, v31 offset1:1
	ds_store_2addr_b32 v77, v29, v28 offset1:1
	ds_store_b32 v69, v22 offset:5416
	global_wb scope:SCOPE_SE
	s_wait_dscnt 0x0
	s_barrier_signal -1
	s_barrier_wait -1
	global_inv scope:SCOPE_SE
	global_load_b128 v[31:34], v17, s[8:9]
	v_sub_nc_u16 v16, v14, v16
	v_and_b32_e32 v17, 0xffff, v19
	v_and_b32_e32 v12, 0xffff, v12
	v_lshlrev_b32_e32 v13, 1, v13
	v_mul_u32_u24_e32 v20, 0x64, v20
	v_and_b32_e32 v22, 0xffff, v16
	v_mul_u32_u24_e32 v16, 0xcccd, v17
	v_mul_u32_u24_e32 v12, 0x64, v12
	v_mul_lo_u16 v6, v6, 41
	s_delay_alu instid0(VALU_DEP_4) | instskip(NEXT) | instid1(VALU_DEP_4)
	v_lshlrev_b32_e32 v17, 4, v22
	v_lshrrev_b32_e32 v21, 19, v16
	v_add_nc_u32_e32 v16, 0x195, v15
	v_lshlrev_b32_e32 v22, 1, v22
	global_load_b128 v[35:38], v17, s[8:9]
	v_mul_lo_u16 v17, v21, 10
	v_and_b32_e32 v18, 0xffff, v16
	v_add3_u32 v22, 0, v20, v22
	s_delay_alu instid0(VALU_DEP_3) | instskip(NEXT) | instid1(VALU_DEP_1)
	v_sub_nc_u16 v17, v19, v17
	v_and_b32_e32 v24, 0xffff, v17
	s_delay_alu instid0(VALU_DEP_4) | instskip(NEXT) | instid1(VALU_DEP_2)
	v_mul_u32_u24_e32 v17, 0xcccd, v18
	v_lshlrev_b32_e32 v18, 4, v24
	s_delay_alu instid0(VALU_DEP_2) | instskip(SKIP_4) | instid1(VALU_DEP_2)
	v_lshrrev_b32_e32 v25, 19, v17
	v_add_nc_u32_e32 v17, 0x21c, v15
	global_load_b128 v[61:64], v18, s[8:9]
	v_mul_lo_u16 v18, v25, 10
	v_and_b32_e32 v23, 0xffff, v17
	v_sub_nc_u16 v18, v16, v18
	s_delay_alu instid0(VALU_DEP_1) | instskip(NEXT) | instid1(VALU_DEP_3)
	v_and_b32_e32 v27, 0xffff, v18
	v_mul_u32_u24_e32 v18, 0xcccd, v23
	s_delay_alu instid0(VALU_DEP_2) | instskip(NEXT) | instid1(VALU_DEP_2)
	v_lshlrev_b32_e32 v23, 4, v27
	v_lshrrev_b32_e32 v26, 19, v18
	v_add_nc_u32_e32 v18, 0x2a3, v15
	global_load_b128 v[65:68], v23, s[8:9]
	v_mul_lo_u16 v23, v26, 10
	v_and_b32_e32 v28, 0xffff, v18
	s_delay_alu instid0(VALU_DEP_2) | instskip(NEXT) | instid1(VALU_DEP_1)
	v_sub_nc_u16 v23, v17, v23
	v_and_b32_e32 v29, 0xffff, v23
	s_delay_alu instid0(VALU_DEP_3) | instskip(NEXT) | instid1(VALU_DEP_2)
	v_mul_u32_u24_e32 v23, 0xcccd, v28
	v_lshlrev_b32_e32 v30, 4, v29
	s_delay_alu instid0(VALU_DEP_2) | instskip(SKIP_2) | instid1(VALU_DEP_1)
	v_lshrrev_b32_e32 v28, 19, v23
	global_load_b128 v[72:75], v30, s[8:9]
	v_mul_lo_u16 v23, v28, 10
	v_sub_nc_u16 v23, v18, v23
	s_delay_alu instid0(VALU_DEP_1) | instskip(NEXT) | instid1(VALU_DEP_1)
	v_and_b32_e32 v30, 0xffff, v23
	v_lshlrev_b32_e32 v23, 4, v30
	global_load_b128 v[86:89], v23, s[8:9]
	ds_load_u16 v43, v0 offset:3780
	ds_load_u16 v45, v0 offset:4050
	;; [unrolled: 1-line block ×21, first 2 shown]
	s_wait_loadcnt 0x5
	v_lshrrev_b32_e32 v85, 16, v31
	v_lshrrev_b32_e32 v100, 16, v32
	;; [unrolled: 1-line block ×4, first 2 shown]
	s_wait_dscnt 0x11
	v_mul_f16_e32 v101, v70, v85
	v_mul_f16_e32 v85, v78, v85
	s_wait_dscnt 0xf
	v_mul_f16_e32 v104, v76, v100
	s_wait_dscnt 0x5
	v_mul_f16_e32 v105, v84, v103
	v_fmac_f16_e32 v101, v78, v31
	v_mul_f16_e32 v78, v79, v100
	v_fma_f16 v70, v70, v31, -v85
	v_mul_f16_e32 v31, v80, v102
	v_mul_f16_e32 v100, v83, v102
	v_fmac_f16_e32 v104, v79, v32
	v_fma_f16 v102, v76, v32, -v78
	s_wait_loadcnt 0x4
	v_lshrrev_b32_e32 v32, 16, v35
	v_fma_f16 v106, v83, v33, -v31
	v_mul_f16_e32 v31, v81, v103
	ds_load_u16 v76, v0 offset:2160
	v_fmac_f16_e32 v100, v80, v33
	v_lshrrev_b32_e32 v33, 16, v36
	v_mul_f16_e32 v103, v69, v32
	v_fma_f16 v107, v84, v34, -v31
	v_mul_f16_e32 v31, v58, v32
	v_lshrrev_b32_e32 v32, 16, v37
	v_fmac_f16_e32 v105, v81, v34
	v_lshrrev_b32_e32 v34, 16, v38
	v_fmac_f16_e32 v103, v58, v35
	v_fma_f16 v109, v69, v35, -v31
	v_mul_f16_e32 v31, v59, v33
	v_mul_f16_e32 v110, v82, v32
	;; [unrolled: 1-line block ×4, first 2 shown]
	s_wait_dscnt 0x5
	v_mul_f16_e32 v111, v95, v34
	v_fma_f16 v112, v71, v36, -v31
	s_wait_loadcnt 0x3
	v_lshrrev_b32_e32 v31, 16, v61
	v_fma_f16 v113, v82, v37, -v32
	v_mul_f16_e32 v32, v57, v34
	v_lshrrev_b32_e32 v35, 16, v62
	ds_load_u16 v33, v0 offset:2430
	ds_load_u16 v34, v0 offset:2700
	s_wait_dscnt 0x2
	v_mul_f16_e32 v69, v76, v31
	v_mul_f16_e32 v31, v56, v31
	v_fma_f16 v95, v95, v38, -v32
	v_mul_f16_e32 v71, v43, v35
	v_mul_f16_e32 v32, v53, v35
	v_lshrrev_b32_e32 v35, 16, v63
	v_fma_f16 v78, v76, v61, -v31
	v_lshrrev_b32_e32 v31, 16, v64
	v_fmac_f16_e32 v108, v59, v36
	v_fma_f16 v85, v43, v62, -v32
	v_mul_f16_e32 v32, v54, v35
	v_mul_f16_e32 v114, v77, v35
	;; [unrolled: 1-line block ×4, first 2 shown]
	v_fmac_f16_e32 v110, v60, v37
	v_fma_f16 v116, v77, v63, -v32
	ds_load_u16 v32, v0 offset:4320
	s_wait_loadcnt 0x2
	v_lshrrev_b32_e32 v36, 16, v67
	v_fma_f16 v96, v96, v64, -v31
	v_lshrrev_b32_e32 v31, 16, v66
	v_lshrrev_b32_e32 v35, 16, v65
	;; [unrolled: 1-line block ×3, first 2 shown]
	v_fmac_f16_e32 v111, v57, v38
	ds_load_u16 v38, v0
	v_mul_f16_e32 v80, v45, v31
	v_mul_f16_e32 v31, v49, v31
	s_wait_dscnt 0x3
	v_mul_f16_e32 v83, v33, v35
	v_mul_f16_e32 v35, v50, v35
	v_fmac_f16_e32 v115, v55, v64
	v_mul_f16_e32 v82, v90, v36
	v_fma_f16 v77, v45, v66, -v31
	v_mul_f16_e32 v31, v51, v36
	v_fma_f16 v76, v33, v65, -v35
	v_mul_f16_e32 v33, v52, v37
	v_fmac_f16_e32 v114, v54, v63
	v_fmac_f16_e32 v80, v49, v66
	v_fma_f16 v79, v90, v67, -v31
	s_wait_loadcnt 0x1
	v_lshrrev_b32_e32 v31, 16, v73
	v_lshrrev_b32_e32 v36, 16, v75
	v_fma_f16 v81, v97, v68, -v33
	v_lshrrev_b32_e32 v33, 16, v74
	v_lshrrev_b32_e32 v35, 16, v72
	s_wait_dscnt 0x1
	v_mul_f16_e32 v64, v32, v31
	v_mul_f16_e32 v31, v44, v31
	v_fmac_f16_e32 v69, v56, v61
	v_mul_f16_e32 v66, v91, v33
	v_mul_f16_e32 v33, v46, v33
	v_fmac_f16_e32 v82, v51, v67
	v_fma_f16 v59, v32, v73, -v31
	v_mul_f16_e32 v31, v48, v36
	v_mul_f16_e32 v67, v34, v35
	;; [unrolled: 1-line block ×3, first 2 shown]
	v_fmac_f16_e32 v64, v44, v73
	v_fma_f16 v61, v91, v74, -v33
	v_fma_f16 v63, v98, v75, -v31
	v_fmac_f16_e32 v66, v46, v74
	v_fma_f16 v58, v34, v72, -v35
	v_mul_f16_e32 v84, v97, v37
	s_wait_loadcnt 0x0
	v_lshrrev_b32_e32 v32, 16, v86
	v_lshrrev_b32_e32 v31, 16, v87
	;; [unrolled: 1-line block ×4, first 2 shown]
	v_add_f16_e32 v45, v101, v105
	v_mul_f16_e32 v51, v93, v32
	v_mul_f16_e32 v32, v41, v32
	;; [unrolled: 1-line block ×6, first 2 shown]
	v_fma_f16 v34, v93, v86, -v32
	v_fmac_f16_e32 v44, v42, v87
	v_fma_f16 v42, v94, v87, -v31
	v_mul_f16_e32 v31, v40, v33
	v_add_f16_e32 v32, v11, v101
	v_add_f16_e32 v33, v104, v100
	v_fmac_f16_e32 v51, v41, v86
	v_fmac_f16_e32 v46, v40, v88
	v_fma_f16 v43, v92, v88, -v31
	v_add_f16_e32 v31, v32, v104
	v_fmac_f16_e32 v54, v39, v89
	v_mul_f16_e32 v39, v39, v35
	v_fma_f16 v32, -0.5, v33, v11
	v_sub_f16_e32 v40, v70, v107
	v_add_f16_e32 v41, v31, v100
	v_fmac_f16_e32 v84, v52, v68
	v_fmac_f16_e32 v67, v47, v72
	v_mul_f16_e32 v68, v98, v36
	v_sub_f16_e32 v35, v101, v104
	v_sub_f16_e32 v36, v105, v100
	v_fmamk_f16 v33, v40, 0xbb9c, v32
	v_sub_f16_e32 v47, v102, v106
	v_fmac_f16_e32 v11, -0.5, v45
	v_fma_f16 v55, v99, v89, -v39
	v_add_f16_e32 v45, v41, v105
	v_fmac_f16_e32 v32, 0x3b9c, v40
	v_sub_f16_e32 v39, v104, v101
	v_sub_f16_e32 v41, v100, v105
	s_wait_dscnt 0x0
	v_add_f16_e32 v49, v38, v70
	v_add_f16_e32 v52, v102, v106
	v_fmac_f16_e32 v83, v50, v65
	v_fmac_f16_e32 v68, v48, v75
	v_add_f16_e32 v48, v35, v36
	v_fmac_f16_e32 v33, 0xb8b4, v47
	v_fmamk_f16 v50, v47, 0x3b9c, v11
	v_fmac_f16_e32 v32, 0x38b4, v47
	v_add_f16_e32 v41, v39, v41
	v_fmac_f16_e32 v11, 0xbb9c, v47
	v_add_f16_e32 v47, v49, v102
	v_fma_f16 v39, -0.5, v52, v38
	v_sub_f16_e32 v49, v101, v105
	v_fmac_f16_e32 v71, v53, v62
	v_fmac_f16_e32 v33, 0x34f2, v48
	;; [unrolled: 1-line block ×5, first 2 shown]
	v_fmamk_f16 v40, v49, 0x3b9c, v39
	v_add_f16_e32 v48, v70, v107
	v_sub_f16_e32 v52, v104, v100
	v_sub_f16_e32 v53, v70, v102
	;; [unrolled: 1-line block ×3, first 2 shown]
	v_fmac_f16_e32 v39, 0xbb9c, v49
	ds_load_u16 v35, v0 offset:270
	ds_load_u16 v37, v0 offset:540
	;; [unrolled: 1-line block ×4, first 2 shown]
	v_add_f16_e32 v47, v47, v106
	v_fmac_f16_e32 v38, -0.5, v48
	v_fmac_f16_e32 v40, 0x38b4, v52
	v_add_f16_e32 v48, v53, v56
	v_fmac_f16_e32 v39, 0xb8b4, v52
	v_add_f16_e32 v60, v10, v103
	v_fmac_f16_e32 v50, 0x34f2, v41
	v_fmac_f16_e32 v11, 0x34f2, v41
	v_add_f16_e32 v41, v47, v107
	v_fmamk_f16 v47, v52, 0xbb9c, v38
	v_sub_f16_e32 v53, v102, v70
	v_sub_f16_e32 v56, v106, v107
	v_fmac_f16_e32 v40, 0x34f2, v48
	v_add_f16_e32 v57, v108, v110
	v_fmac_f16_e32 v39, 0x34f2, v48
	v_fmac_f16_e32 v38, 0x3b9c, v52
	v_add_f16_e32 v48, v60, v108
	v_add_f16_e32 v70, v103, v111
	v_fmac_f16_e32 v47, 0x38b4, v49
	v_add_f16_e32 v53, v53, v56
	v_fma_f16 v56, -0.5, v57, v10
	v_sub_f16_e32 v65, v109, v95
	v_sub_f16_e32 v52, v112, v113
	v_sub_f16_e32 v60, v103, v108
	v_sub_f16_e32 v62, v111, v110
	v_fmac_f16_e32 v38, 0xb8b4, v49
	v_add_f16_e32 v48, v48, v110
	v_fmac_f16_e32 v10, -0.5, v70
	v_fmac_f16_e32 v47, 0x34f2, v53
	v_fmamk_f16 v57, v65, 0xbb9c, v56
	v_add_f16_e32 v49, v60, v62
	v_fmac_f16_e32 v38, 0x34f2, v53
	v_add_f16_e32 v60, v48, v111
	v_fmac_f16_e32 v56, 0x3b9c, v65
	v_fmamk_f16 v62, v52, 0x3b9c, v10
	v_sub_f16_e32 v48, v108, v103
	v_sub_f16_e32 v53, v110, v111
	s_wait_dscnt 0x3
	v_add_f16_e32 v70, v35, v109
	v_add_f16_e32 v72, v112, v113
	v_fmac_f16_e32 v10, 0xbb9c, v52
	v_fmac_f16_e32 v57, 0xb8b4, v52
	;; [unrolled: 1-line block ×4, first 2 shown]
	v_add_f16_e32 v53, v48, v53
	v_add_f16_e32 v52, v70, v112
	v_fma_f16 v48, -0.5, v72, v35
	v_sub_f16_e32 v72, v103, v111
	v_fmac_f16_e32 v10, 0x38b4, v65
	v_add_f16_e32 v65, v109, v95
	v_sub_f16_e32 v70, v109, v112
	v_sub_f16_e32 v74, v95, v113
	v_fmac_f16_e32 v57, 0x34f2, v49
	v_fmac_f16_e32 v56, 0x34f2, v49
	v_fmamk_f16 v49, v72, 0x3b9c, v48
	v_sub_f16_e32 v73, v108, v110
	v_fmac_f16_e32 v35, -0.5, v65
	v_add_f16_e32 v65, v70, v74
	v_fmac_f16_e32 v48, 0xbb9c, v72
	v_sub_f16_e32 v70, v112, v109
	v_sub_f16_e32 v74, v113, v95
	v_add_f16_e32 v75, v71, v114
	v_fmac_f16_e32 v49, 0x38b4, v73
	v_fmac_f16_e32 v48, 0xb8b4, v73
	v_add_f16_e32 v86, v9, v69
	v_add_f16_e32 v74, v70, v74
	v_fma_f16 v70, -0.5, v75, v9
	v_sub_f16_e32 v87, v78, v96
	v_add_f16_e32 v89, v69, v115
	v_fmac_f16_e32 v62, 0x34f2, v53
	v_fmac_f16_e32 v10, 0x34f2, v53
	v_fmamk_f16 v53, v73, 0xbb9c, v35
	v_fmac_f16_e32 v49, 0x34f2, v65
	v_fmac_f16_e32 v48, 0x34f2, v65
	;; [unrolled: 1-line block ×3, first 2 shown]
	v_add_f16_e32 v65, v86, v71
	v_fmamk_f16 v73, v87, 0xbb9c, v70
	v_sub_f16_e32 v86, v85, v116
	v_sub_f16_e32 v75, v69, v71
	;; [unrolled: 1-line block ×3, first 2 shown]
	v_fmac_f16_e32 v9, -0.5, v89
	v_fmac_f16_e32 v70, 0x3b9c, v87
	s_wait_dscnt 0x2
	v_add_f16_e32 v89, v37, v78
	v_fmac_f16_e32 v53, 0x38b4, v72
	v_fmac_f16_e32 v35, 0xb8b4, v72
	v_add_f16_e32 v65, v65, v114
	v_fmac_f16_e32 v73, 0xb8b4, v86
	v_add_f16_e32 v72, v75, v88
	v_fmamk_f16 v75, v86, 0x3b9c, v9
	v_fmac_f16_e32 v70, 0x38b4, v86
	v_fmac_f16_e32 v9, 0xbb9c, v86
	v_add_f16_e32 v86, v89, v85
	v_fmac_f16_e32 v53, 0x34f2, v74
	v_fmac_f16_e32 v35, 0x34f2, v74
	v_add_f16_e32 v74, v65, v115
	v_fmac_f16_e32 v73, 0x34f2, v72
	v_sub_f16_e32 v65, v71, v69
	v_sub_f16_e32 v88, v114, v115
	v_add_f16_e32 v90, v85, v116
	v_fmac_f16_e32 v70, 0x34f2, v72
	v_add_f16_e32 v72, v86, v116
	v_add_f16_e32 v86, v78, v96
	v_fmac_f16_e32 v75, 0xb8b4, v87
	v_add_f16_e32 v88, v65, v88
	v_fma_f16 v65, -0.5, v90, v37
	v_sub_f16_e32 v89, v69, v115
	v_fmac_f16_e32 v9, 0x38b4, v87
	v_sub_f16_e32 v87, v71, v114
	v_sub_f16_e32 v90, v78, v85
	;; [unrolled: 1-line block ×3, first 2 shown]
	v_fmac_f16_e32 v37, -0.5, v86
	v_fmac_f16_e32 v75, 0x34f2, v88
	v_fmamk_f16 v69, v89, 0x3b9c, v65
	v_fmac_f16_e32 v9, 0x34f2, v88
	v_add_f16_e32 v71, v72, v96
	v_add_f16_e32 v86, v90, v91
	v_fmac_f16_e32 v65, 0xbb9c, v89
	v_fmamk_f16 v72, v87, 0xbb9c, v37
	v_sub_f16_e32 v78, v85, v78
	v_sub_f16_e32 v85, v116, v96
	v_add_f16_e32 v88, v80, v82
	v_add_f16_e32 v90, v7, v83
	v_fmac_f16_e32 v37, 0x3b9c, v87
	v_fmac_f16_e32 v69, 0x38b4, v87
	;; [unrolled: 1-line block ×4, first 2 shown]
	v_add_f16_e32 v78, v78, v85
	v_fma_f16 v85, -0.5, v88, v7
	v_sub_f16_e32 v91, v76, v81
	v_add_f16_e32 v87, v90, v80
	v_sub_f16_e32 v88, v83, v80
	v_sub_f16_e32 v92, v84, v82
	v_add_f16_e32 v93, v83, v84
	v_fmac_f16_e32 v37, 0xb8b4, v89
	v_fmac_f16_e32 v69, 0x34f2, v86
	;; [unrolled: 1-line block ×4, first 2 shown]
	v_fmamk_f16 v86, v91, 0xbb9c, v85
	v_sub_f16_e32 v90, v77, v79
	v_add_f16_e32 v87, v87, v82
	v_add_f16_e32 v89, v88, v92
	v_fmac_f16_e32 v7, -0.5, v93
	v_fmac_f16_e32 v37, 0x34f2, v78
	v_fmac_f16_e32 v85, 0x3b9c, v91
	v_sub_f16_e32 v78, v80, v83
	v_sub_f16_e32 v92, v82, v84
	s_wait_dscnt 0x1
	v_add_f16_e32 v93, v36, v76
	v_add_f16_e32 v94, v77, v79
	v_fmac_f16_e32 v86, 0xb8b4, v90
	v_add_f16_e32 v87, v87, v84
	v_fmamk_f16 v88, v90, 0x3b9c, v7
	v_fmac_f16_e32 v85, 0x38b4, v90
	v_add_f16_e32 v92, v78, v92
	v_fmac_f16_e32 v7, 0xbb9c, v90
	v_add_f16_e32 v90, v93, v77
	v_fma_f16 v78, -0.5, v94, v36
	v_sub_f16_e32 v84, v83, v84
	v_fmac_f16_e32 v86, 0x34f2, v89
	v_fmac_f16_e32 v88, 0xb8b4, v91
	;; [unrolled: 1-line block ×4, first 2 shown]
	v_add_f16_e32 v89, v90, v79
	v_fmamk_f16 v83, v84, 0x3b9c, v78
	v_add_f16_e32 v90, v76, v81
	v_sub_f16_e32 v91, v80, v82
	v_sub_f16_e32 v82, v76, v77
	;; [unrolled: 1-line block ×3, first 2 shown]
	v_fmac_f16_e32 v78, 0xbb9c, v84
	v_sub_f16_e32 v76, v77, v76
	v_sub_f16_e32 v77, v79, v81
	v_add_f16_e32 v79, v64, v66
	v_fmac_f16_e32 v36, -0.5, v90
	v_add_f16_e32 v80, v89, v81
	v_fmac_f16_e32 v83, 0x38b4, v91
	v_add_f16_e32 v89, v82, v93
	v_fmac_f16_e32 v78, 0xb8b4, v91
	v_add_f16_e32 v76, v76, v77
	v_add_f16_e32 v77, v5, v67
	v_fma_f16 v79, -0.5, v79, v5
	v_sub_f16_e32 v81, v58, v63
	v_fmac_f16_e32 v88, 0x34f2, v92
	v_fmac_f16_e32 v7, 0x34f2, v92
	v_fmamk_f16 v82, v91, 0xbb9c, v36
	v_fmac_f16_e32 v83, 0x34f2, v89
	v_fmac_f16_e32 v78, 0x34f2, v89
	;; [unrolled: 1-line block ×3, first 2 shown]
	v_add_f16_e32 v77, v77, v64
	v_fmamk_f16 v89, v81, 0xbb9c, v79
	v_sub_f16_e32 v90, v59, v61
	v_sub_f16_e32 v91, v67, v64
	;; [unrolled: 1-line block ×3, first 2 shown]
	v_add_f16_e32 v93, v67, v68
	v_fmac_f16_e32 v79, 0x3b9c, v81
	v_fmac_f16_e32 v82, 0x38b4, v84
	;; [unrolled: 1-line block ×3, first 2 shown]
	v_add_f16_e32 v77, v77, v66
	v_fmac_f16_e32 v89, 0xb8b4, v90
	v_add_f16_e32 v84, v91, v92
	v_fmac_f16_e32 v5, -0.5, v93
	v_sub_f16_e32 v91, v64, v67
	v_sub_f16_e32 v92, v66, v68
	v_fmac_f16_e32 v79, 0x38b4, v90
	s_wait_dscnt 0x0
	v_add_f16_e32 v93, v31, v58
	v_add_f16_e32 v94, v59, v61
	v_fmac_f16_e32 v82, 0x34f2, v76
	v_fmac_f16_e32 v36, 0x34f2, v76
	v_add_f16_e32 v76, v77, v68
	v_fmac_f16_e32 v89, 0x34f2, v84
	v_fmamk_f16 v77, v90, 0x3b9c, v5
	v_add_f16_e32 v91, v91, v92
	v_fmac_f16_e32 v5, 0xbb9c, v90
	v_add_f16_e32 v90, v93, v59
	v_fma_f16 v92, -0.5, v94, v31
	v_sub_f16_e32 v67, v67, v68
	v_fmac_f16_e32 v79, 0x34f2, v84
	v_add_f16_e32 v84, v58, v63
	v_fmac_f16_e32 v77, 0xb8b4, v81
	v_fmac_f16_e32 v5, 0x38b4, v81
	v_add_f16_e32 v68, v90, v61
	v_fmamk_f16 v81, v67, 0x3b9c, v92
	v_sub_f16_e32 v64, v64, v66
	v_sub_f16_e32 v66, v58, v59
	;; [unrolled: 1-line block ×3, first 2 shown]
	v_fmac_f16_e32 v31, -0.5, v84
	v_fmac_f16_e32 v92, 0xbb9c, v67
	v_sub_f16_e32 v58, v59, v58
	v_sub_f16_e32 v59, v61, v63
	v_add_f16_e32 v61, v44, v46
	v_add_f16_e32 v84, v68, v63
	v_fmac_f16_e32 v81, 0x38b4, v64
	v_add_f16_e32 v66, v66, v90
	v_fmamk_f16 v90, v64, 0xbb9c, v31
	v_fmac_f16_e32 v92, 0xb8b4, v64
	v_fmac_f16_e32 v31, 0x3b9c, v64
	v_fma_f16 v61, -0.5, v61, v8
	v_sub_f16_e32 v63, v34, v55
	v_fmac_f16_e32 v81, 0x34f2, v66
	v_fmac_f16_e32 v90, 0x38b4, v67
	v_add_f16_e32 v58, v58, v59
	v_add_f16_e32 v59, v8, v51
	v_fmac_f16_e32 v92, 0x34f2, v66
	v_fmac_f16_e32 v31, 0xb8b4, v67
	v_fmamk_f16 v64, v63, 0xbb9c, v61
	v_sub_f16_e32 v66, v42, v43
	v_sub_f16_e32 v67, v51, v44
	;; [unrolled: 1-line block ×3, first 2 shown]
	v_fmac_f16_e32 v61, 0x3b9c, v63
	v_fmac_f16_e32 v77, 0x34f2, v91
	;; [unrolled: 1-line block ×3, first 2 shown]
	v_add_f16_e32 v59, v59, v44
	v_add_f16_e32 v91, v51, v54
	v_fmac_f16_e32 v64, 0xb8b4, v66
	v_add_f16_e32 v67, v67, v68
	v_fmac_f16_e32 v61, 0x38b4, v66
	v_add_f16_e32 v59, v59, v46
	v_fmac_f16_e32 v8, -0.5, v91
	v_fmac_f16_e32 v90, 0x34f2, v58
	v_fmac_f16_e32 v64, 0x34f2, v67
	;; [unrolled: 1-line block ×3, first 2 shown]
	v_add_f16_e32 v67, v23, v34
	v_fmac_f16_e32 v31, 0x34f2, v58
	v_add_f16_e32 v58, v59, v54
	v_fmamk_f16 v59, v66, 0x3b9c, v8
	v_fmac_f16_e32 v8, 0xbb9c, v66
	v_add_f16_e32 v66, v67, v42
	v_add_f16_e32 v68, v42, v43
	v_sub_f16_e32 v91, v44, v51
	v_fmac_f16_e32 v59, 0xb8b4, v63
	v_fmac_f16_e32 v8, 0x38b4, v63
	v_add_f16_e32 v63, v66, v43
	v_add_f16_e32 v66, v34, v55
	v_sub_f16_e32 v93, v46, v54
	v_fma_f16 v94, -0.5, v68, v23
	v_sub_f16_e32 v44, v44, v46
	v_sub_f16_e32 v51, v51, v54
	v_fmac_f16_e32 v23, -0.5, v66
	v_add_f16_e32 v54, v91, v93
	global_wb scope:SCOPE_SE
	s_barrier_signal -1
	v_fmamk_f16 v91, v51, 0x3b9c, v94
	v_fmamk_f16 v93, v44, 0xbb9c, v23
	v_fmac_f16_e32 v23, 0x3b9c, v44
	v_fmac_f16_e32 v94, 0xbb9c, v51
	s_barrier_wait -1
	global_inv scope:SCOPE_SE
	v_fmac_f16_e32 v93, 0x38b4, v51
	v_fmac_f16_e32 v23, 0xb8b4, v51
	v_add3_u32 v51, 0, v12, v13
	v_mul_u32_u24_e32 v12, 0x64, v21
	v_lshlrev_b32_e32 v13, 1, v24
	ds_store_b16 v51, v45
	ds_store_b16 v51, v33 offset:20
	ds_store_b16 v51, v50 offset:40
	;; [unrolled: 1-line block ×4, first 2 shown]
	ds_store_b16 v22, v60
	ds_store_b16 v22, v57 offset:20
	ds_store_b16 v22, v62 offset:40
	;; [unrolled: 1-line block ×4, first 2 shown]
	v_add3_u32 v11, 0, v12, v13
	v_mul_u32_u24_e32 v12, 0x64, v25
	v_lshlrev_b32_e32 v13, 1, v27
	v_mul_u32_u24_e32 v10, 0x64, v26
	v_add_f16_e32 v52, v52, v113
	v_fmac_f16_e32 v59, 0x34f2, v54
	v_fmac_f16_e32 v8, 0x34f2, v54
	v_add3_u32 v21, 0, v12, v13
	v_lshlrev_b32_e32 v12, 1, v29
	v_add_f16_e32 v54, v63, v55
	v_sub_f16_e32 v46, v34, v42
	v_sub_f16_e32 v63, v55, v43
	;; [unrolled: 1-line block ×4, first 2 shown]
	ds_store_b16 v11, v74
	ds_store_b16 v11, v73 offset:20
	ds_store_b16 v11, v75 offset:40
	;; [unrolled: 1-line block ×4, first 2 shown]
	v_add3_u32 v9, 0, v10, v12
	v_mul_u32_u24_e32 v10, 0x64, v28
	v_lshlrev_b32_e32 v12, 1, v30
	v_add_f16_e32 v52, v52, v95
	v_fmac_f16_e32 v91, 0x38b4, v44
	v_add_f16_e32 v43, v46, v63
	v_fmac_f16_e32 v94, 0xb8b4, v44
	v_add_f16_e32 v34, v34, v42
	ds_store_b16 v21, v87
	ds_store_b16 v21, v86 offset:20
	ds_store_b16 v21, v88 offset:40
	ds_store_b16 v21, v7 offset:60
	ds_store_b16 v21, v85 offset:80
	v_add3_u32 v7, 0, v10, v12
	ds_store_b16 v9, v76
	ds_store_b16 v9, v89 offset:20
	ds_store_b16 v9, v77 offset:40
	;; [unrolled: 1-line block ×4, first 2 shown]
	ds_store_b16 v7, v58
	ds_store_b16 v7, v64 offset:20
	ds_store_b16 v7, v59 offset:40
	;; [unrolled: 1-line block ×4, first 2 shown]
	v_lshlrev_b32_e32 v5, 1, v15
	v_fmac_f16_e32 v91, 0x34f2, v43
	v_fmac_f16_e32 v94, 0x34f2, v43
	;; [unrolled: 1-line block ×4, first 2 shown]
	global_wb scope:SCOPE_SE
	s_wait_dscnt 0x0
	s_barrier_signal -1
	s_barrier_wait -1
	global_inv scope:SCOPE_SE
	ds_load_u16 v34, v0
	ds_load_u16 v33, v0 offset:270
	ds_load_u16 v32, v0 offset:540
	;; [unrolled: 1-line block ×12, first 2 shown]
	v_add_nc_u32_e32 v20, 0, v5
	ds_load_u16 v68, v0 offset:2970
	ds_load_u16 v66, v0 offset:3240
	;; [unrolled: 1-line block ×17, first 2 shown]
	global_wb scope:SCOPE_SE
	s_wait_dscnt 0x0
	s_barrier_signal -1
	s_barrier_wait -1
	global_inv scope:SCOPE_SE
	ds_store_b16 v51, v41
	ds_store_b16 v51, v40 offset:20
	ds_store_b16 v51, v47 offset:40
	;; [unrolled: 1-line block ×4, first 2 shown]
	ds_store_b16 v22, v52
	ds_store_b16 v22, v49 offset:20
	ds_store_b16 v22, v53 offset:40
	;; [unrolled: 1-line block ×4, first 2 shown]
	v_lshrrev_b16 v35, 11, v6
	ds_store_b16 v11, v71
	ds_store_b16 v11, v69 offset:20
	ds_store_b16 v11, v72 offset:40
	;; [unrolled: 1-line block ×4, first 2 shown]
	ds_store_b16 v21, v80
	ds_store_b16 v21, v83 offset:20
	ds_store_b16 v21, v82 offset:40
	;; [unrolled: 1-line block ×4, first 2 shown]
	v_lshrrev_b16 v11, 1, v14
	ds_store_b16 v9, v84
	ds_store_b16 v9, v81 offset:20
	ds_store_b16 v9, v90 offset:40
	ds_store_b16 v9, v31 offset:60
	ds_store_b16 v9, v92 offset:80
	v_mul_lo_u16 v6, v35, 50
	v_lshrrev_b16 v9, 1, v19
	ds_store_b16 v7, v54
	ds_store_b16 v7, v91 offset:20
	ds_store_b16 v7, v93 offset:40
	;; [unrolled: 1-line block ×4, first 2 shown]
	v_lshrrev_b16 v24, 1, v17
	global_wb scope:SCOPE_SE
	s_wait_dscnt 0x0
	v_sub_nc_u16 v6, v15, v6
	v_and_b32_e32 v9, 0xffff, v9
	s_barrier_signal -1
	v_and_b32_e32 v25, 0xffff, v24
	s_barrier_wait -1
	v_and_b32_e32 v36, 0xff, v6
	v_and_b32_e32 v6, 0xffff, v11
	v_lshrrev_b16 v11, 1, v16
	v_mul_u32_u24_e32 v21, 0x147b, v9
	global_inv scope:SCOPE_SE
	v_lshlrev_b32_e32 v7, 3, v36
	v_mul_u32_u24_e32 v6, 0x147b, v6
	v_and_b32_e32 v11, 0xffff, v11
	v_lshrrev_b32_e32 v38, 17, v21
	v_lshrrev_b16 v24, 1, v18
	v_and_b32_e32 v35, 0xffff, v35
	v_lshrrev_b32_e32 v37, 17, v6
	v_mul_u32_u24_e32 v21, 0x147b, v11
	v_mul_lo_u16 v23, v38, 50
	global_load_b64 v[6:7], v7, s[8:9] offset:160
	v_and_b32_e32 v27, 0xffff, v24
	v_mul_lo_u16 v22, v37, 50
	v_lshrrev_b32_e32 v41, 17, v21
	v_sub_nc_u16 v21, v19, v23
	v_lshlrev_b32_e32 v36, 1, v36
	v_mul_u32_u24_e32 v24, 0x147b, v27
	v_sub_nc_u16 v22, v14, v22
	v_mul_u32_u24_e32 v35, 0x12c, v35
	v_and_b32_e32 v47, 0xffff, v21
	v_mul_u32_u24_e32 v21, 0x147b, v25
	v_lshrrev_b32_e32 v50, 17, v24
	v_and_b32_e32 v48, 0xffff, v22
	v_mul_lo_u16 v22, v41, 50
	v_mul_u32_u24_e32 v37, 0x12c, v37
	v_lshrrev_b32_e32 v49, 17, v21
	v_add_nc_u32_e32 v21, 0x32a, v15
	v_lshlrev_b32_e32 v23, 3, v48
	v_sub_nc_u16 v22, v16, v22
	v_lshlrev_b32_e32 v48, 1, v48
	v_mul_u32_u24_e32 v9, 0xda75, v9
	v_mul_u32_u24_e32 v25, 0xda75, v25
	global_load_b64 v[78:79], v23, s[8:9] offset:160
	v_and_b32_e32 v51, 0xffff, v22
	v_mul_lo_u16 v22, v49, 50
	v_add3_u32 v48, 0, v37, v48
	v_mul_u32_u24_e32 v37, 0x12c, v41
	v_mul_u32_u24_e32 v41, 0x12c, v49
	v_lshlrev_b32_e32 v26, 3, v51
	v_sub_nc_u16 v39, v17, v22
	v_add_nc_u32_e32 v22, 0x3b1, v15
	v_lshrrev_b32_e32 v25, 22, v25
	v_mul_u32_u24_e32 v27, 0xda75, v27
	global_load_b64 v[82:83], v26, s[8:9] offset:160
	v_and_b32_e32 v52, 0xffff, v39
	v_lshlrev_b32_e32 v23, 3, v47
	v_lshrrev_b16 v24, 1, v22
	v_lshrrev_b32_e32 v27, 22, v27
	s_delay_alu instid0(VALU_DEP_4)
	v_lshlrev_b32_e32 v40, 3, v52
	global_load_b64 v[80:81], v23, s[8:9] offset:160
	v_and_b32_e32 v26, 0xffff, v24
	global_load_b64 v[84:85], v40, s[8:9] offset:160
	v_lshrrev_b16 v23, 1, v21
	v_mul_u32_u24_e32 v24, 0x147b, v26
	s_delay_alu instid0(VALU_DEP_2) | instskip(SKIP_1) | instid1(VALU_DEP_3)
	v_and_b32_e32 v31, 0xffff, v23
	v_mul_lo_u16 v23, v50, 50
	v_lshrrev_b32_e32 v65, 17, v24
	s_delay_alu instid0(VALU_DEP_3) | instskip(NEXT) | instid1(VALU_DEP_3)
	v_mul_u32_u24_e32 v39, 0x147b, v31
	v_sub_nc_u16 v54, v18, v23
	v_add_nc_u32_e32 v23, 0x438, v15
	s_delay_alu instid0(VALU_DEP_3) | instskip(NEXT) | instid1(VALU_DEP_3)
	v_lshrrev_b32_e32 v53, 17, v39
	v_and_b32_e32 v72, 0xffff, v54
	s_delay_alu instid0(VALU_DEP_3) | instskip(NEXT) | instid1(VALU_DEP_3)
	v_lshrrev_b16 v40, 1, v23
	v_mul_lo_u16 v39, v53, 50
	s_delay_alu instid0(VALU_DEP_3) | instskip(NEXT) | instid1(VALU_DEP_3)
	v_lshlrev_b32_e32 v54, 3, v72
	v_and_b32_e32 v40, 0xffff, v40
	s_delay_alu instid0(VALU_DEP_3)
	v_sub_nc_u16 v24, v21, v39
	v_mul_lo_u16 v39, v65, 50
	global_load_b64 v[86:87], v54, s[8:9] offset:160
	v_and_b32_e32 v74, 0xffff, v24
	v_add_nc_u32_e32 v24, 0x4bf, v15
	v_sub_nc_u16 v39, v22, v39
	s_delay_alu instid0(VALU_DEP_3) | instskip(NEXT) | instid1(VALU_DEP_3)
	v_lshlrev_b32_e32 v71, 3, v74
	v_lshrrev_b16 v76, 1, v24
	s_delay_alu instid0(VALU_DEP_3) | instskip(SKIP_4) | instid1(VALU_DEP_3)
	v_and_b32_e32 v75, 0xffff, v39
	global_load_b64 v[88:89], v71, s[8:9] offset:160
	v_mul_u32_u24_e32 v54, 0x147b, v40
	v_and_b32_e32 v39, 0xffff, v76
	v_lshlrev_b32_e32 v71, 3, v75
	v_lshrrev_b32_e32 v69, 17, v54
	s_delay_alu instid0(VALU_DEP_3) | instskip(SKIP_4) | instid1(VALU_DEP_3)
	v_mul_u32_u24_e32 v76, 0x147b, v39
	global_load_b64 v[90:91], v71, s[8:9] offset:160
	v_mul_u32_u24_e32 v39, 0xda75, v39
	v_mul_lo_u16 v54, v69, 50
	v_lshrrev_b32_e32 v71, 17, v76
	v_lshrrev_b32_e32 v39, 22, v39
	s_delay_alu instid0(VALU_DEP_3) | instskip(NEXT) | instid1(VALU_DEP_2)
	v_sub_nc_u16 v54, v23, v54
	v_mul_lo_u16 v39, 0x96, v39
	s_delay_alu instid0(VALU_DEP_2) | instskip(SKIP_1) | instid1(VALU_DEP_3)
	v_and_b32_e32 v76, 0xffff, v54
	v_mul_lo_u16 v54, v71, 50
	v_sub_nc_u16 v39, v24, v39
	s_delay_alu instid0(VALU_DEP_3) | instskip(NEXT) | instid1(VALU_DEP_3)
	v_lshlrev_b32_e32 v77, 3, v76
	v_sub_nc_u16 v54, v24, v54
	global_load_b64 v[92:93], v77, s[8:9] offset:160
	v_and_b32_e32 v77, 0xffff, v54
	s_delay_alu instid0(VALU_DEP_1)
	v_lshlrev_b32_e32 v54, 3, v77
	global_load_b64 v[94:95], v54, s[8:9] offset:160
	ds_load_u16 v96, v0 offset:2700
	ds_load_u16 v54, v0 offset:1620
	;; [unrolled: 1-line block ×18, first 2 shown]
	s_wait_loadcnt 0x9
	v_lshrrev_b32_e32 v98, 16, v6
	v_lshrrev_b32_e32 v106, 16, v7
	s_wait_dscnt 0x11
	s_delay_alu instid0(VALU_DEP_2)
	v_mul_f16_e32 v107, v96, v98
	v_mul_f16_e32 v98, v67, v98
	s_wait_dscnt 0xf
	v_mul_f16_e32 v116, v97, v106
	v_mul_f16_e32 v106, v73, v106
	v_fmac_f16_e32 v107, v67, v6
	v_fma_f16 v6, v96, v6, -v98
	s_delay_alu instid0(VALU_DEP_4) | instskip(NEXT) | instid1(VALU_DEP_4)
	v_fmac_f16_e32 v116, v73, v7
	v_fma_f16 v97, v97, v7, -v106
	s_wait_loadcnt 0x8
	v_lshrrev_b32_e32 v67, 16, v78
	v_lshrrev_b32_e32 v96, 16, v79
	s_wait_dscnt 0xe
	s_delay_alu instid0(VALU_DEP_2) | instskip(SKIP_3) | instid1(VALU_DEP_3)
	v_mul_f16_e32 v73, v99, v67
	v_mul_f16_e32 v7, v68, v67
	s_wait_dscnt 0xd
	v_mul_f16_e32 v67, v100, v96
	v_fmac_f16_e32 v73, v68, v78
	v_mul_f16_e32 v68, v70, v96
	v_fma_f16 v78, v99, v78, -v7
	s_delay_alu instid0(VALU_DEP_4) | instskip(NEXT) | instid1(VALU_DEP_3)
	v_fmac_f16_e32 v67, v70, v79
	v_fma_f16 v68, v100, v79, -v68
	s_wait_loadcnt 0x6
	v_lshrrev_b32_e32 v98, 16, v80
	v_lshrrev_b32_e32 v7, 16, v81
	s_wait_dscnt 0x7
	s_delay_alu instid0(VALU_DEP_2) | instskip(SKIP_1) | instid1(VALU_DEP_3)
	v_mul_f16_e32 v96, v108, v98
	v_mul_f16_e32 v70, v66, v98
	;; [unrolled: 1-line block ×4, first 2 shown]
	s_delay_alu instid0(VALU_DEP_4) | instskip(SKIP_1) | instid1(VALU_DEP_4)
	v_fmac_f16_e32 v96, v66, v80
	v_lshrrev_b32_e32 v66, 16, v82
	v_fmac_f16_e32 v79, v63, v81
	v_lshrrev_b32_e32 v63, 16, v83
	v_fma_f16 v81, v101, v81, -v7
	v_fma_f16 v80, v108, v80, -v70
	s_wait_dscnt 0x6
	v_mul_f16_e32 v98, v109, v66
	v_mul_f16_e32 v7, v64, v66
	s_wait_loadcnt 0x5
	v_lshrrev_b32_e32 v66, 16, v84
	v_mul_f16_e32 v99, v102, v63
	v_mul_f16_e32 v63, v61, v63
	v_fmac_f16_e32 v98, v64, v82
	v_fma_f16 v64, v109, v82, -v7
	s_wait_dscnt 0x5
	v_mul_f16_e32 v82, v110, v66
	v_lshrrev_b32_e32 v7, 16, v85
	v_fmac_f16_e32 v99, v61, v83
	v_fma_f16 v61, v102, v83, -v63
	v_mul_f16_e32 v63, v62, v66
	v_fmac_f16_e32 v82, v62, v84
	v_mul_f16_e32 v66, v103, v7
	v_mul_f16_e32 v7, v59, v7
	s_wait_loadcnt 0x4
	v_lshrrev_b32_e32 v62, 16, v86
	v_lshrrev_b32_e32 v70, 16, v87
	v_fmac_f16_e32 v66, v59, v85
	v_fma_f16 v59, v103, v85, -v7
	v_fma_f16 v63, v110, v84, -v63
	s_wait_dscnt 0x4
	v_mul_f16_e32 v83, v111, v62
	v_mul_f16_e32 v7, v60, v62
	;; [unrolled: 1-line block ×3, first 2 shown]
	s_delay_alu instid0(VALU_DEP_3) | instskip(SKIP_1) | instid1(VALU_DEP_4)
	v_fmac_f16_e32 v83, v60, v86
	v_mul_f16_e32 v60, v58, v70
	v_fma_f16 v84, v111, v86, -v7
	s_wait_loadcnt 0x3
	v_lshrrev_b32_e32 v70, 16, v88
	v_lshrrev_b32_e32 v7, 16, v89
	ds_load_u16 v85, v0 offset:7290
	ds_load_u16 v86, v0 offset:7560
	v_fmac_f16_e32 v62, v58, v87
	v_fma_f16 v58, v104, v87, -v60
	s_wait_dscnt 0x5
	v_mul_f16_e32 v60, v112, v70
	v_mul_f16_e32 v70, v57, v70
	;; [unrolled: 1-line block ×4, first 2 shown]
	s_wait_loadcnt 0x2
	v_lshrrev_b32_e32 v100, 16, v90
	v_fmac_f16_e32 v60, v57, v88
	v_fma_f16 v57, v112, v88, -v70
	v_fmac_f16_e32 v87, v55, v89
	v_fma_f16 v88, v105, v89, -v7
	s_wait_dscnt 0x4
	v_mul_f16_e32 v89, v113, v100
	v_mul_f16_e32 v55, v56, v100
	v_lshrrev_b32_e32 v100, 16, v91
	ds_load_u16 v7, v20 offset:2430
	ds_load_u16 v101, v0 offset:7830
	v_sub_f16_e32 v105, v6, v97
	v_fmac_f16_e32 v89, v56, v90
	v_fma_f16 v56, v113, v90, -v55
	s_wait_dscnt 0x3
	v_mul_f16_e32 v102, v85, v100
	v_mul_f16_e32 v100, v46, v100
	ds_load_u16 v55, v20 offset:2160
	ds_load_u16 v70, v20 offset:1890
	v_fmac_f16_e32 v102, v46, v91
	v_fma_f16 v46, v85, v91, -v100
	s_wait_loadcnt 0x1
	v_lshrrev_b32_e32 v90, 16, v92
	v_lshrrev_b32_e32 v103, 16, v93
	s_delay_alu instid0(VALU_DEP_2) | instskip(SKIP_2) | instid1(VALU_DEP_3)
	v_mul_f16_e32 v104, v114, v90
	v_mul_f16_e32 v90, v45, v90
	s_wait_dscnt 0x4
	v_mul_f16_e32 v85, v86, v103
	v_mul_f16_e32 v91, v44, v103
	v_fmac_f16_e32 v104, v45, v92
	v_fma_f16 v45, v114, v92, -v90
	ds_load_u16 v92, v0
	s_wait_loadcnt 0x0
	v_lshrrev_b32_e32 v90, 16, v94
	v_fmac_f16_e32 v85, v44, v93
	v_lshrrev_b32_e32 v44, 16, v95
	v_fma_f16 v86, v86, v93, -v91
	s_delay_alu instid0(VALU_DEP_4)
	v_mul_f16_e32 v100, v115, v90
	v_mul_f16_e32 v90, v42, v90
	s_wait_dscnt 0x3
	v_mul_f16_e32 v91, v101, v44
	v_mul_f16_e32 v44, v43, v44
	v_fmac_f16_e32 v100, v42, v94
	v_fma_f16 v90, v115, v94, -v90
	s_delay_alu instid0(VALU_DEP_4) | instskip(NEXT) | instid1(VALU_DEP_4)
	v_fmac_f16_e32 v91, v43, v95
	v_fma_f16 v43, v101, v95, -v44
	ds_load_u16 v93, v0 offset:270
	ds_load_u16 v94, v0 offset:540
	;; [unrolled: 1-line block ×5, first 2 shown]
	v_add_f16_e32 v42, v107, v116
	v_add_f16_e32 v44, v34, v107
	global_wb scope:SCOPE_SE
	s_wait_dscnt 0x0
	s_barrier_signal -1
	s_barrier_wait -1
	v_fmac_f16_e32 v34, -0.5, v42
	v_add_f16_e32 v42, v6, v97
	v_add_f16_e32 v6, v92, v6
	global_inv scope:SCOPE_SE
	v_fmamk_f16 v106, v105, 0xbaee, v34
	v_fmac_f16_e32 v92, -0.5, v42
	v_add_f16_e32 v42, v44, v116
	v_sub_f16_e32 v44, v107, v116
	v_add_f16_e32 v6, v6, v97
	v_add_f16_e32 v97, v73, v67
	v_fmac_f16_e32 v34, 0x3aee, v105
	v_add_f16_e32 v107, v33, v73
	v_fmamk_f16 v105, v44, 0x3aee, v92
	v_fmac_f16_e32 v92, 0xbaee, v44
	v_add_f16_e32 v44, v78, v68
	v_fmac_f16_e32 v33, -0.5, v97
	v_sub_f16_e32 v97, v78, v68
	v_add_f16_e32 v78, v93, v78
	s_delay_alu instid0(VALU_DEP_4) | instskip(SKIP_2) | instid1(VALU_DEP_4)
	v_fmac_f16_e32 v93, -0.5, v44
	v_add_f16_e32 v44, v107, v67
	v_sub_f16_e32 v67, v73, v67
	v_add_f16_e32 v78, v78, v68
	v_add_f16_e32 v68, v96, v79
	v_fmamk_f16 v73, v97, 0xbaee, v33
	v_fmac_f16_e32 v33, 0x3aee, v97
	v_fmamk_f16 v97, v67, 0x3aee, v93
	v_fmac_f16_e32 v93, 0xbaee, v67
	v_add_f16_e32 v67, v80, v81
	v_add_f16_e32 v107, v32, v96
	v_fmac_f16_e32 v32, -0.5, v68
	v_sub_f16_e32 v68, v80, v81
	v_add_f16_e32 v80, v94, v80
	v_fmac_f16_e32 v94, -0.5, v67
	v_add_f16_e32 v67, v107, v79
	v_sub_f16_e32 v79, v96, v79
	v_fmamk_f16 v96, v68, 0xbaee, v32
	v_fmac_f16_e32 v32, 0x3aee, v68
	v_add_f16_e32 v68, v98, v99
	v_add_f16_e32 v80, v80, v81
	v_fmamk_f16 v81, v79, 0x3aee, v94
	v_fmac_f16_e32 v94, 0xbaee, v79
	v_add_f16_e32 v79, v64, v61
	v_add_f16_e32 v107, v30, v98
	v_fmac_f16_e32 v30, -0.5, v68
	v_sub_f16_e32 v68, v64, v61
	v_add_f16_e32 v64, v95, v64
	v_fmac_f16_e32 v95, -0.5, v79
	v_add_f16_e32 v79, v107, v99
	v_sub_f16_e32 v98, v98, v99
	v_fmamk_f16 v99, v68, 0xbaee, v30
	v_add_f16_e32 v107, v64, v61
	v_add_f16_e32 v61, v82, v66
	v_fmac_f16_e32 v30, 0x3aee, v68
	v_add_f16_e32 v64, v63, v59
	v_add_f16_e32 v68, v29, v82
	v_fmamk_f16 v108, v98, 0x3aee, v95
	v_fmac_f16_e32 v29, -0.5, v61
	v_sub_f16_e32 v61, v63, v59
	v_add_f16_e32 v63, v101, v63
	v_fmac_f16_e32 v101, -0.5, v64
	v_add_f16_e32 v64, v68, v66
	v_sub_f16_e32 v66, v82, v66
	v_fmac_f16_e32 v95, 0xbaee, v98
	v_add_f16_e32 v82, v63, v59
	v_add_f16_e32 v59, v83, v62
	v_fmamk_f16 v68, v61, 0xbaee, v29
	v_fmac_f16_e32 v29, 0x3aee, v61
	v_fmamk_f16 v98, v66, 0x3aee, v101
	v_fmac_f16_e32 v101, 0xbaee, v66
	v_add_f16_e32 v61, v84, v58
	v_add_f16_e32 v63, v12, v83
	v_fmac_f16_e32 v12, -0.5, v59
	v_sub_f16_e32 v59, v84, v58
	v_add_f16_e32 v66, v103, v84
	v_fmac_f16_e32 v103, -0.5, v61
	v_add_f16_e32 v61, v63, v62
	v_sub_f16_e32 v62, v83, v62
	v_fmamk_f16 v63, v59, 0xbaee, v12
	v_fmac_f16_e32 v12, 0x3aee, v59
	v_add_f16_e32 v83, v66, v58
	v_add_f16_e32 v58, v60, v87
	;; [unrolled: 1-line block ×3, first 2 shown]
	v_fmamk_f16 v84, v62, 0x3aee, v103
	v_fmac_f16_e32 v103, 0xbaee, v62
	v_add_f16_e32 v62, v8, v60
	v_fmac_f16_e32 v8, -0.5, v58
	v_sub_f16_e32 v58, v57, v88
	v_add_f16_e32 v57, v54, v57
	v_fmac_f16_e32 v54, -0.5, v59
	v_sub_f16_e32 v60, v60, v87
	v_add_f16_e32 v59, v62, v87
	v_fmamk_f16 v62, v58, 0xbaee, v8
	v_fmac_f16_e32 v8, 0x3aee, v58
	v_add_f16_e32 v87, v57, v88
	v_add_f16_e32 v57, v89, v102
	v_fmamk_f16 v88, v60, 0x3aee, v54
	v_fmac_f16_e32 v54, 0xbaee, v60
	v_add_f16_e32 v58, v56, v46
	v_add_f16_e32 v60, v28, v89
	v_fmac_f16_e32 v28, -0.5, v57
	v_sub_f16_e32 v57, v56, v46
	v_add_f16_e32 v56, v70, v56
	v_fmac_f16_e32 v70, -0.5, v58
	v_add_f16_e32 v58, v60, v102
	v_sub_f16_e32 v60, v89, v102
	v_fmamk_f16 v66, v57, 0xbaee, v28
	v_fmac_f16_e32 v28, 0x3aee, v57
	v_add_f16_e32 v46, v56, v46
	v_add_f16_e32 v56, v104, v85
	v_fmamk_f16 v89, v60, 0x3aee, v70
	v_fmac_f16_e32 v70, 0xbaee, v60
	v_add_f16_e32 v57, v45, v86
	v_add_f16_e32 v60, v13, v104
	v_fmac_f16_e32 v13, -0.5, v56
	v_sub_f16_e32 v56, v45, v86
	v_add_f16_e32 v45, v55, v45
	v_fmac_f16_e32 v55, -0.5, v57
	v_add_f16_e32 v57, v60, v85
	v_sub_f16_e32 v60, v104, v85
	v_add3_u32 v104, 0, v35, v36
	ds_store_b16 v104, v42
	ds_store_b16 v104, v106 offset:100
	ds_store_b16 v104, v34 offset:200
	v_lshlrev_b32_e32 v34, 1, v47
	v_mul_u32_u24_e32 v35, 0x12c, v38
	v_lshlrev_b32_e32 v36, 1, v51
	ds_store_b16 v48, v44
	ds_store_b16 v48, v73 offset:100
	ds_store_b16 v48, v33 offset:200
	v_lshlrev_b32_e32 v33, 1, v52
	v_fmamk_f16 v85, v56, 0xbaee, v13
	v_add3_u32 v47, 0, v35, v34
	v_add3_u32 v51, 0, v37, v36
	v_lshlrev_b32_e32 v34, 1, v72
	ds_store_b16 v47, v67
	ds_store_b16 v47, v96 offset:100
	ds_store_b16 v47, v32 offset:200
	v_mul_u32_u24_e32 v32, 0x12c, v50
	v_add3_u32 v49, 0, v41, v33
	v_lshlrev_b32_e32 v35, 1, v74
	v_lshlrev_b32_e32 v36, 1, v75
	ds_store_b16 v51, v79
	ds_store_b16 v51, v99 offset:100
	ds_store_b16 v51, v30 offset:200
	v_add3_u32 v50, 0, v32, v34
	v_mul_u32_u24_e32 v30, 0x12c, v53
	ds_store_b16 v49, v64
	ds_store_b16 v49, v68 offset:100
	ds_store_b16 v49, v29 offset:200
	v_mul_u32_u24_e32 v29, 0x12c, v65
	v_fmac_f16_e32 v13, 0x3aee, v56
	v_add_f16_e32 v86, v45, v86
	v_add_f16_e32 v45, v100, v91
	v_fmamk_f16 v102, v60, 0x3aee, v55
	v_fmac_f16_e32 v55, 0xbaee, v60
	v_add_f16_e32 v56, v90, v43
	v_add_f16_e32 v60, v10, v100
	v_lshlrev_b32_e32 v37, 1, v76
	v_add3_u32 v52, 0, v30, v35
	ds_store_b16 v50, v61
	ds_store_b16 v50, v63 offset:100
	ds_store_b16 v50, v12 offset:200
	v_add3_u32 v12, 0, v29, v36
	v_mul_u32_u24_e32 v29, 0x12c, v69
	v_fmac_f16_e32 v10, -0.5, v45
	v_add_f16_e32 v45, v7, v90
	v_sub_f16_e32 v90, v90, v43
	v_fmac_f16_e32 v7, -0.5, v56
	v_add_f16_e32 v56, v60, v91
	v_sub_f16_e32 v60, v100, v91
	v_lshlrev_b32_e32 v38, 1, v77
	v_mul_u32_u24_e32 v30, 0x12c, v71
	ds_store_b16 v52, v59
	ds_store_b16 v52, v62 offset:100
	ds_store_b16 v52, v8 offset:200
	v_add3_u32 v8, 0, v29, v37
	v_fmamk_f16 v91, v90, 0xbaee, v10
	v_fmac_f16_e32 v10, 0x3aee, v90
	v_add_f16_e32 v90, v45, v43
	v_fmamk_f16 v100, v60, 0x3aee, v7
	v_fmac_f16_e32 v7, 0xbaee, v60
	v_add3_u32 v71, 0, v30, v38
	ds_store_b16 v12, v58
	ds_store_b16 v12, v66 offset:100
	ds_store_b16 v12, v28 offset:200
	ds_store_b16 v8, v57
	ds_store_b16 v8, v85 offset:100
	ds_store_b16 v8, v13 offset:200
	;; [unrolled: 3-line block ×3, first 2 shown]
	global_wb scope:SCOPE_SE
	s_wait_dscnt 0x0
	s_barrier_signal -1
	s_barrier_wait -1
	global_inv scope:SCOPE_SE
	ds_load_u16 v38, v0
	ds_load_u16 v37, v0 offset:270
	ds_load_u16 v36, v0 offset:540
	;; [unrolled: 1-line block ×29, first 2 shown]
	global_wb scope:SCOPE_SE
	s_wait_dscnt 0x0
	s_barrier_signal -1
	s_barrier_wait -1
	global_inv scope:SCOPE_SE
	ds_store_b16 v104, v6
	ds_store_b16 v104, v105 offset:100
	ds_store_b16 v104, v92 offset:200
	ds_store_b16 v48, v78
	ds_store_b16 v48, v97 offset:100
	ds_store_b16 v48, v93 offset:200
	ds_store_b16 v47, v80
	ds_store_b16 v47, v81 offset:100
	ds_store_b16 v47, v94 offset:200
	ds_store_b16 v51, v107
	ds_store_b16 v51, v108 offset:100
	ds_store_b16 v51, v95 offset:200
	ds_store_b16 v49, v82
	ds_store_b16 v49, v98 offset:100
	ds_store_b16 v49, v101 offset:200
	ds_store_b16 v50, v83
	ds_store_b16 v50, v84 offset:100
	ds_store_b16 v50, v103 offset:200
	ds_store_b16 v52, v87
	ds_store_b16 v52, v88 offset:100
	ds_store_b16 v52, v54 offset:200
	v_mov_b32_e32 v6, 0
	ds_store_b16 v12, v46
	ds_store_b16 v12, v89 offset:100
	ds_store_b16 v12, v70 offset:200
	ds_store_b16 v8, v86
	ds_store_b16 v8, v102 offset:100
	ds_store_b16 v8, v55 offset:200
	;; [unrolled: 3-line block ×3, first 2 shown]
	v_add_nc_u32_e32 v10, -15, v15
	v_lshrrev_b32_e32 v46, 22, v9
	v_lshlrev_b64_e32 v[12:13], 2, v[5:6]
	v_mul_u32_u24_e32 v48, 0xda75, v11
	global_wb scope:SCOPE_SE
	s_wait_dscnt 0x0
	s_barrier_signal -1
	v_mul_lo_u16 v47, 0x96, v46
	s_barrier_wait -1
	v_add_co_u32 v7, s0, s8, v12
	s_wait_alu 0xf1ff
	v_add_co_ci_u32_e64 v8, s0, s9, v13, s0
	v_cmp_gt_u32_e64 s0, 15, v15
	v_sub_nc_u16 v49, v19, v47
	v_lshrrev_b32_e32 v47, 22, v48
	global_inv scope:SCOPE_SE
	global_load_b64 v[12:13], v[7:8], off offset:560
	s_wait_alu 0xf1ff
	v_cndmask_b32_e64 v10, v10, v14, s0
	v_and_b32_e32 v48, 0xffff, v49
	v_mul_lo_u16 v49, 0x96, v47
	v_mul_lo_u16 v51, 0x96, v27
	v_mul_u32_u24_e32 v46, 0x384, v46
	v_dual_mov_b32 v10, v6 :: v_dual_lshlrev_b32 v9, 1, v10
	s_delay_alu instid0(VALU_DEP_1) | instskip(NEXT) | instid1(VALU_DEP_1)
	v_lshlrev_b64_e32 v[10:11], 2, v[9:10]
	v_add_co_u32 v10, s0, s8, v10
	s_wait_alu 0xf1ff
	s_delay_alu instid0(VALU_DEP_2) | instskip(SKIP_4) | instid1(VALU_DEP_2)
	v_add_co_ci_u32_e64 v11, s0, s9, v11, s0
	v_cmp_lt_u32_e64 s0, 14, v15
	global_load_b64 v[71:72], v[10:11], off offset:560
	v_sub_nc_u16 v11, v16, v49
	v_lshlrev_b32_e32 v10, 3, v48
	v_and_b32_e32 v49, 0xffff, v11
	global_load_b64 v[73:74], v10, s[8:9] offset:560
	v_lshlrev_b32_e32 v11, 3, v49
	global_load_b64 v[75:76], v11, s[8:9] offset:560
	v_mul_lo_u16 v10, 0x96, v25
	v_sub_nc_u16 v11, v18, v51
	v_mul_u32_u24_e32 v25, 0x384, v25
	s_delay_alu instid0(VALU_DEP_3) | instskip(NEXT) | instid1(VALU_DEP_3)
	v_sub_nc_u16 v10, v17, v10
	v_and_b32_e32 v51, 0xffff, v11
	s_delay_alu instid0(VALU_DEP_2) | instskip(SKIP_1) | instid1(VALU_DEP_2)
	v_and_b32_e32 v50, 0xffff, v10
	v_mul_u32_u24_e32 v10, 0xda75, v31
	v_lshlrev_b32_e32 v52, 3, v50
	s_delay_alu instid0(VALU_DEP_2)
	v_lshrrev_b32_e32 v31, 22, v10
	v_mul_u32_u24_e32 v10, 0xda75, v26
	global_load_b64 v[77:78], v52, s[8:9] offset:560
	v_mul_lo_u16 v11, 0x96, v31
	v_lshlrev_b32_e32 v52, 3, v51
	v_lshrrev_b32_e32 v26, 22, v10
	s_delay_alu instid0(VALU_DEP_3) | instskip(SKIP_4) | instid1(VALU_DEP_3)
	v_sub_nc_u16 v10, v21, v11
	global_load_b64 v[79:80], v52, s[8:9] offset:560
	v_mul_lo_u16 v11, 0x96, v26
	v_and_b32_e32 v52, 0xffff, v10
	v_mul_u32_u24_e32 v10, 0xda75, v40
	v_sub_nc_u16 v11, v22, v11
	s_delay_alu instid0(VALU_DEP_3) | instskip(NEXT) | instid1(VALU_DEP_3)
	v_lshlrev_b32_e32 v55, 3, v52
	v_lshrrev_b32_e32 v40, 22, v10
	s_delay_alu instid0(VALU_DEP_3) | instskip(SKIP_3) | instid1(VALU_DEP_2)
	v_and_b32_e32 v54, 0xffff, v11
	global_load_b64 v[81:82], v55, s[8:9] offset:560
	v_mul_lo_u16 v10, 0x96, v40
	v_lshlrev_b32_e32 v11, 3, v54
	v_sub_nc_u16 v55, v23, v10
	global_load_b64 v[10:11], v11, s[8:9] offset:560
	v_and_b32_e32 v55, 0xffff, v55
	s_delay_alu instid0(VALU_DEP_1) | instskip(SKIP_2) | instid1(VALU_DEP_1)
	v_lshlrev_b32_e32 v70, 3, v55
	global_load_b64 v[83:84], v70, s[8:9] offset:560
	v_and_b32_e32 v70, 0xffff, v39
	v_lshlrev_b32_e32 v39, 3, v70
	global_load_b64 v[85:86], v39, s[8:9] offset:560
	ds_load_u16 v87, v0 offset:2700
	ds_load_u16 v39, v0 offset:1620
	;; [unrolled: 1-line block ×18, first 2 shown]
	s_wait_loadcnt 0x9
	v_lshrrev_b32_e32 v90, 16, v12
	v_lshrrev_b32_e32 v97, 16, v13
	s_wait_dscnt 0x11
	s_delay_alu instid0(VALU_DEP_2) | instskip(SKIP_3) | instid1(VALU_DEP_3)
	v_mul_f16_e32 v98, v87, v90
	v_mul_f16_e32 v90, v66, v90
	s_wait_dscnt 0xf
	v_mul_f16_e32 v107, v88, v97
	v_fmac_f16_e32 v98, v66, v12
	s_delay_alu instid0(VALU_DEP_3) | instskip(SKIP_1) | instid1(VALU_DEP_4)
	v_fma_f16 v87, v87, v12, -v90
	v_mul_f16_e32 v12, v69, v97
	v_fmac_f16_e32 v107, v69, v13
	s_delay_alu instid0(VALU_DEP_2) | instskip(SKIP_4) | instid1(VALU_DEP_2)
	v_fma_f16 v88, v88, v13, -v12
	s_wait_loadcnt 0x8
	v_lshrrev_b32_e32 v66, 16, v71
	v_lshrrev_b32_e32 v69, 16, v72
	s_wait_dscnt 0xe
	v_mul_f16_e32 v90, v89, v66
	s_wait_dscnt 0xd
	s_delay_alu instid0(VALU_DEP_2)
	v_mul_f16_e32 v97, v91, v69
	s_wait_loadcnt 0x7
	v_lshrrev_b32_e32 v12, 16, v73
	v_mul_f16_e32 v13, v68, v69
	v_mul_f16_e32 v66, v67, v66
	v_fmac_f16_e32 v90, v67, v71
	v_fmac_f16_e32 v97, v68, v72
	s_wait_dscnt 0x7
	v_mul_f16_e32 v67, v99, v12
	v_lshrrev_b32_e32 v68, 16, v74
	v_mul_f16_e32 v12, v65, v12
	v_fma_f16 v69, v91, v72, -v13
	s_wait_loadcnt 0x6
	v_lshrrev_b32_e32 v13, 16, v75
	v_fma_f16 v66, v89, v71, -v66
	v_fmac_f16_e32 v67, v65, v73
	v_mul_f16_e32 v65, v92, v68
	v_fma_f16 v71, v99, v73, -v12
	v_mul_f16_e32 v12, v63, v68
	v_lshrrev_b32_e32 v68, 16, v76
	s_wait_dscnt 0x6
	v_mul_f16_e32 v72, v100, v13
	v_mul_f16_e32 v13, v64, v13
	v_fmac_f16_e32 v65, v63, v74
	v_fma_f16 v63, v92, v74, -v12
	v_mul_f16_e32 v73, v93, v68
	v_fmac_f16_e32 v72, v64, v75
	v_fma_f16 v64, v100, v75, -v13
	v_mul_f16_e32 v13, v61, v68
	s_delay_alu instid0(VALU_DEP_4) | instskip(NEXT) | instid1(VALU_DEP_2)
	v_fmac_f16_e32 v73, v61, v76
	v_fma_f16 v74, v93, v76, -v13
	s_wait_loadcnt 0x5
	v_lshrrev_b32_e32 v12, 16, v77
	v_lshrrev_b32_e32 v61, 16, v78
	s_wait_dscnt 0x5
	s_delay_alu instid0(VALU_DEP_2)
	v_mul_f16_e32 v68, v101, v12
	v_mul_f16_e32 v12, v62, v12
	s_wait_loadcnt 0x4
	v_lshrrev_b32_e32 v13, 16, v79
	v_mul_f16_e32 v75, v94, v61
	v_lshrrev_b32_e32 v76, 16, v80
	v_fmac_f16_e32 v68, v62, v77
	v_fma_f16 v62, v101, v77, -v12
	v_mul_f16_e32 v12, v59, v61
	s_wait_dscnt 0x4
	v_mul_f16_e32 v61, v102, v13
	v_mul_f16_e32 v13, v60, v13
	v_fmac_f16_e32 v75, v59, v78
	v_fma_f16 v77, v94, v78, -v12
	s_delay_alu instid0(VALU_DEP_4) | instskip(NEXT) | instid1(VALU_DEP_4)
	v_fmac_f16_e32 v61, v60, v79
	v_fma_f16 v60, v102, v79, -v13
	v_mul_f16_e32 v78, v95, v76
	v_mul_f16_e32 v13, v57, v76
	s_wait_loadcnt 0x3
	v_lshrrev_b32_e32 v76, 16, v82
	ds_load_u16 v79, v0 offset:7290
	ds_load_u16 v89, v0 offset:7560
	v_lshrrev_b32_e32 v12, 16, v81
	v_fmac_f16_e32 v78, v57, v80
	v_fma_f16 v80, v95, v80, -v13
	v_mul_f16_e32 v59, v96, v76
	s_wait_loadcnt 0x2
	v_lshrrev_b32_e32 v13, 16, v10
	s_wait_dscnt 0x5
	v_mul_f16_e32 v57, v103, v12
	v_mul_f16_e32 v12, v58, v12
	;; [unrolled: 1-line block ×3, first 2 shown]
	v_fmac_f16_e32 v59, v53, v82
	s_wait_dscnt 0x4
	v_mul_f16_e32 v53, v104, v13
	v_fmac_f16_e32 v57, v58, v81
	v_fma_f16 v58, v103, v81, -v12
	v_fma_f16 v76, v96, v82, -v76
	ds_load_u16 v12, v20 offset:2430
	v_mul_f16_e32 v81, v56, v13
	v_lshrrev_b32_e32 v82, 16, v11
	v_fmac_f16_e32 v53, v56, v10
	ds_load_u16 v56, v0 offset:7830
	s_wait_loadcnt 0x1
	v_lshrrev_b32_e32 v91, 16, v83
	v_fma_f16 v10, v104, v10, -v81
	s_wait_dscnt 0x3
	v_mul_f16_e32 v93, v79, v82
	v_lshrrev_b32_e32 v81, 16, v84
	v_mul_f16_e32 v82, v45, v82
	v_mul_f16_e32 v94, v105, v91
	ds_load_u16 v13, v20 offset:2160
	ds_load_u16 v92, v20 offset:1890
	v_fmac_f16_e32 v93, v45, v11
	v_mul_f16_e32 v45, v44, v91
	s_wait_dscnt 0x4
	v_mul_f16_e32 v91, v89, v81
	v_fmac_f16_e32 v94, v44, v83
	s_wait_loadcnt 0x0
	v_lshrrev_b32_e32 v44, 16, v85
	v_fma_f16 v11, v79, v11, -v82
	ds_load_u16 v82, v0
	v_fmac_f16_e32 v91, v43, v84
	v_lshrrev_b32_e32 v79, 16, v86
	v_mul_f16_e32 v43, v43, v81
	v_mul_f16_e32 v81, v106, v44
	;; [unrolled: 1-line block ×3, first 2 shown]
	v_fma_f16 v45, v105, v83, -v45
	s_wait_dscnt 0x3
	v_mul_f16_e32 v83, v56, v79
	v_fma_f16 v43, v89, v84, -v43
	v_fmac_f16_e32 v81, v41, v85
	v_fma_f16 v41, v106, v85, -v44
	v_mul_f16_e32 v44, v42, v79
	s_wait_alu 0xf1ff
	v_cndmask_b32_e64 v79, 0, 0x384, s0
	v_fmac_f16_e32 v83, v42, v86
	v_add_f16_e32 v42, v98, v107
	v_sub_f16_e32 v95, v87, v88
	v_fma_f16 v44, v56, v86, -v44
	v_add3_u32 v9, 0, v79, v9
	ds_load_u16 v79, v0 offset:270
	ds_load_u16 v84, v0 offset:540
	ds_load_u16 v85, v0 offset:810
	ds_load_u16 v86, v0 offset:1080
	ds_load_u16 v89, v0 offset:1350
	v_add_f16_e32 v56, v38, v98
	v_fmac_f16_e32 v38, -0.5, v42
	v_add_f16_e32 v42, v87, v88
	s_wait_dscnt 0x5
	v_add_f16_e32 v87, v82, v87
	global_wb scope:SCOPE_SE
	s_wait_dscnt 0x0
	s_barrier_signal -1
	v_fmamk_f16 v96, v95, 0xbaee, v38
	v_fmac_f16_e32 v82, -0.5, v42
	v_add_f16_e32 v42, v56, v107
	v_sub_f16_e32 v56, v98, v107
	v_add_f16_e32 v87, v87, v88
	v_add_f16_e32 v88, v90, v97
	v_fmac_f16_e32 v38, 0x3aee, v95
	v_add_f16_e32 v98, v37, v90
	v_fmamk_f16 v95, v56, 0x3aee, v82
	v_fmac_f16_e32 v82, 0xbaee, v56
	v_add_f16_e32 v56, v66, v69
	v_fmac_f16_e32 v37, -0.5, v88
	v_sub_f16_e32 v88, v66, v69
	v_add_f16_e32 v66, v79, v66
	v_sub_f16_e32 v90, v90, v97
	v_fmac_f16_e32 v79, -0.5, v56
	v_add_f16_e32 v56, v98, v97
	v_fmamk_f16 v97, v88, 0xbaee, v37
	v_add_f16_e32 v66, v66, v69
	v_add_f16_e32 v69, v67, v65
	v_fmac_f16_e32 v37, 0x3aee, v88
	v_fmamk_f16 v88, v90, 0x3aee, v79
	v_fmac_f16_e32 v79, 0xbaee, v90
	v_add_f16_e32 v90, v71, v63
	v_add_f16_e32 v98, v36, v67
	v_fmac_f16_e32 v36, -0.5, v69
	v_sub_f16_e32 v69, v71, v63
	v_add_f16_e32 v71, v84, v71
	v_fmac_f16_e32 v84, -0.5, v90
	v_add_f16_e32 v90, v98, v65
	v_sub_f16_e32 v65, v67, v65
	v_fmamk_f16 v67, v69, 0xbaee, v36
	v_fmac_f16_e32 v36, 0x3aee, v69
	v_add_f16_e32 v69, v72, v73
	v_add_f16_e32 v63, v71, v63
	v_fmamk_f16 v71, v65, 0x3aee, v84
	v_fmac_f16_e32 v84, 0xbaee, v65
	v_add_f16_e32 v65, v64, v74
	v_add_f16_e32 v98, v34, v72
	v_fmac_f16_e32 v34, -0.5, v69
	v_sub_f16_e32 v69, v64, v74
	v_add_f16_e32 v64, v85, v64
	v_fmac_f16_e32 v85, -0.5, v65
	v_add_f16_e32 v65, v98, v73
	v_sub_f16_e32 v72, v72, v73
	v_fmamk_f16 v73, v69, 0xbaee, v34
	v_fmac_f16_e32 v34, 0x3aee, v69
	v_add_f16_e32 v69, v68, v75
	v_add_f16_e32 v64, v64, v74
	v_fmamk_f16 v74, v72, 0x3aee, v85
	v_fmac_f16_e32 v85, 0xbaee, v72
	v_add_f16_e32 v72, v62, v77
	v_add_f16_e32 v98, v32, v68
	v_fmac_f16_e32 v32, -0.5, v69
	v_sub_f16_e32 v69, v62, v77
	v_add_f16_e32 v62, v86, v62
	v_fmac_f16_e32 v86, -0.5, v72
	v_add_f16_e32 v72, v98, v75
	v_sub_f16_e32 v68, v68, v75
	v_fmamk_f16 v75, v69, 0xbaee, v32
	v_fmac_f16_e32 v32, 0x3aee, v69
	v_add_f16_e32 v69, v61, v78
	v_add_f16_e32 v62, v62, v77
	v_fmamk_f16 v77, v68, 0x3aee, v86
	v_fmac_f16_e32 v86, 0xbaee, v68
	v_add_f16_e32 v68, v60, v80
	v_add_f16_e32 v98, v29, v61
	v_fmac_f16_e32 v29, -0.5, v69
	v_sub_f16_e32 v69, v60, v80
	v_add_f16_e32 v60, v89, v60
	v_fmac_f16_e32 v89, -0.5, v68
	v_add_f16_e32 v68, v98, v78
	v_sub_f16_e32 v61, v61, v78
	v_fmamk_f16 v78, v69, 0xbaee, v29
	v_fmac_f16_e32 v29, 0x3aee, v69
	v_add_f16_e32 v69, v57, v59
	v_add_f16_e32 v60, v60, v80
	v_fmamk_f16 v80, v61, 0x3aee, v89
	v_fmac_f16_e32 v89, 0xbaee, v61
	v_add_f16_e32 v61, v58, v76
	v_add_f16_e32 v98, v28, v57
	v_fmac_f16_e32 v28, -0.5, v69
	v_sub_f16_e32 v69, v58, v76
	v_add_f16_e32 v58, v39, v58
	v_fmac_f16_e32 v39, -0.5, v61
	v_add_f16_e32 v61, v98, v59
	v_sub_f16_e32 v57, v57, v59
	v_fmamk_f16 v59, v69, 0xbaee, v28
	v_fmac_f16_e32 v28, 0x3aee, v69
	v_add_f16_e32 v69, v53, v93
	v_add_f16_e32 v58, v58, v76
	v_fmamk_f16 v76, v57, 0x3aee, v39
	v_fmac_f16_e32 v39, 0xbaee, v57
	v_add_f16_e32 v57, v10, v11
	v_add_f16_e32 v98, v35, v53
	v_fmac_f16_e32 v35, -0.5, v69
	v_sub_f16_e32 v69, v10, v11
	v_add_f16_e32 v10, v92, v10
	v_fmac_f16_e32 v92, -0.5, v57
	v_sub_f16_e32 v53, v53, v93
	v_add_f16_e32 v57, v98, v93
	v_fmamk_f16 v93, v69, 0xbaee, v35
	v_add_f16_e32 v10, v10, v11
	v_add_f16_e32 v11, v94, v91
	v_fmac_f16_e32 v35, 0x3aee, v69
	v_fmamk_f16 v69, v53, 0x3aee, v92
	v_fmac_f16_e32 v92, 0xbaee, v53
	v_add_f16_e32 v53, v45, v43
	v_add_f16_e32 v98, v33, v94
	v_fmac_f16_e32 v33, -0.5, v11
	v_sub_f16_e32 v11, v45, v43
	v_add_f16_e32 v45, v13, v45
	v_fmac_f16_e32 v13, -0.5, v53
	v_add_f16_e32 v53, v98, v91
	v_sub_f16_e32 v91, v94, v91
	v_fmamk_f16 v94, v11, 0xbaee, v33
	v_fmac_f16_e32 v33, 0x3aee, v11
	v_add_f16_e32 v11, v45, v43
	v_add_f16_e32 v43, v81, v83
	v_fmamk_f16 v98, v91, 0x3aee, v13
	v_fmac_f16_e32 v13, 0xbaee, v91
	v_add_f16_e32 v45, v41, v44
	v_add_f16_e32 v91, v30, v81
	v_fmac_f16_e32 v30, -0.5, v43
	v_sub_f16_e32 v43, v41, v44
	v_add_f16_e32 v41, v12, v41
	v_fmac_f16_e32 v12, -0.5, v45
	v_sub_f16_e32 v45, v81, v83
	v_add_f16_e32 v81, v91, v83
	v_fmamk_f16 v83, v43, 0xbaee, v30
	v_add_f16_e32 v91, v41, v44
	v_lshlrev_b32_e32 v41, 1, v48
	v_lshlrev_b32_e32 v44, 1, v50
	v_fmac_f16_e32 v30, 0x3aee, v43
	v_fmamk_f16 v99, v45, 0x3aee, v12
	v_fmac_f16_e32 v12, 0xbaee, v45
	v_lshlrev_b32_e32 v43, 1, v49
	v_lshlrev_b32_e32 v45, 1, v51
	;; [unrolled: 1-line block ×3, first 2 shown]
	s_barrier_wait -1
	global_inv scope:SCOPE_SE
	ds_store_b16 v0, v42
	ds_store_b16 v0, v96 offset:300
	ds_store_b16 v0, v38 offset:600
	v_add3_u32 v38, 0, v46, v41
	v_mul_u32_u24_e32 v41, 0x384, v47
	v_add3_u32 v54, 0, v25, v44
	v_mul_u32_u24_e32 v25, 0x384, v27
	v_lshlrev_b32_e32 v48, 1, v52
	v_mul_u32_u24_e32 v27, 0x384, v31
	v_lshlrev_b32_e32 v50, 1, v55
	ds_store_b16 v9, v56
	ds_store_b16 v9, v97 offset:300
	ds_store_b16 v9, v37 offset:600
	v_add3_u32 v37, 0, v41, v43
	v_add3_u32 v55, 0, v25, v45
	v_mul_u32_u24_e32 v25, 0x384, v26
	v_add3_u32 v56, 0, v27, v48
	v_mul_u32_u24_e32 v26, 0x384, v40
	ds_store_b16 v38, v90
	ds_store_b16 v38, v67 offset:300
	ds_store_b16 v38, v36 offset:600
	ds_store_b16 v37, v65
	ds_store_b16 v37, v73 offset:300
	ds_store_b16 v37, v34 offset:600
	v_add3_u32 v65, 0, v25, v49
	ds_store_b16 v54, v72
	ds_store_b16 v54, v75 offset:300
	ds_store_b16 v54, v32 offset:600
	ds_store_b16 v55, v68
	ds_store_b16 v55, v78 offset:300
	ds_store_b16 v55, v29 offset:600
	ds_store_b16 v56, v61
	ds_store_b16 v56, v59 offset:300
	ds_store_b16 v56, v28 offset:600
	v_add3_u32 v59, 0, v26, v50
	v_lshl_add_u32 v61, v70, 1, 0
	ds_store_b16 v65, v57
	ds_store_b16 v65, v93 offset:300
	ds_store_b16 v65, v35 offset:600
	ds_store_b16 v59, v53
	ds_store_b16 v59, v94 offset:300
	ds_store_b16 v59, v33 offset:600
	;; [unrolled: 1-line block ×5, first 2 shown]
	global_wb scope:SCOPE_SE
	s_wait_dscnt 0x0
	s_barrier_signal -1
	s_barrier_wait -1
	global_inv scope:SCOPE_SE
	ds_load_u16 v30, v0
	ds_load_u16 v32, v0 offset:270
	ds_load_u16 v33, v0 offset:540
	;; [unrolled: 1-line block ×29, first 2 shown]
	global_wb scope:SCOPE_SE
	s_wait_dscnt 0x0
	s_barrier_signal -1
	s_barrier_wait -1
	global_inv scope:SCOPE_SE
	ds_store_b16 v0, v87
	ds_store_b16 v0, v95 offset:300
	ds_store_b16 v0, v82 offset:600
	ds_store_b16 v9, v66
	ds_store_b16 v9, v88 offset:300
	ds_store_b16 v9, v79 offset:600
	;; [unrolled: 3-line block ×9, first 2 shown]
	ds_store_b16 v61, v91 offset:7200
	ds_store_b16 v61, v99 offset:7500
	ds_store_b16 v61, v12 offset:7800
	v_dual_mov_b32 v10, v6 :: v_dual_mov_b32 v61, v6
	v_lshlrev_b32_e32 v9, 1, v14
	v_subrev_nc_u32_e32 v13, 45, v15
	v_dual_mov_b32 v12, v6 :: v_dual_lshlrev_b32 v11, 1, v19
	global_wb scope:SCOPE_SE
	s_wait_dscnt 0x0
	v_lshlrev_b64_e32 v[9:10], 2, v[9:10]
	s_barrier_signal -1
	s_barrier_wait -1
	global_inv scope:SCOPE_SE
	global_load_b64 v[54:55], v[7:8], off offset:1760
	v_lshlrev_b64_e32 v[11:12], 2, v[11:12]
	v_add_co_u32 v9, s0, s8, v9
	s_wait_alu 0xf1ff
	v_add_co_ci_u32_e64 v10, s0, s9, v10, s0
	v_cmp_gt_u32_e64 s0, 45, v15
	v_mov_b32_e32 v14, v6
	v_add_nc_u32_e32 v60, 0xb4, v5
	global_load_b64 v[56:57], v[9:10], off offset:1760
	v_add_nc_u32_e32 v5, 0x1c2, v5
	s_wait_alu 0xf1ff
	v_cndmask_b32_e64 v13, v13, v16, s0
	v_add_co_u32 v11, s0, s8, v11
	s_wait_alu 0xf1ff
	v_add_co_ci_u32_e64 v12, s0, s9, v12, s0
	s_delay_alu instid0(VALU_DEP_3)
	v_lshlrev_b32_e32 v13, 1, v13
	v_lshlrev_b64_e32 v[60:61], 2, v[60:61]
	v_and_b32_e32 v19, 0xffff, v22
	global_load_b64 v[58:59], v[11:12], off offset:1760
	v_and_b32_e32 v39, 0xffff, v23
	v_lshlrev_b64_e32 v[37:38], 2, v[13:14]
	v_and_b32_e32 v14, 0xffff, v21
	v_mul_u32_u24_e32 v19, 0x91a3, v19
	s_delay_alu instid0(VALU_DEP_3) | instskip(SKIP_1) | instid1(VALU_DEP_4)
	v_add_co_u32 v37, s0, s8, v37
	s_wait_alu 0xf1ff
	v_add_co_ci_u32_e64 v38, s0, s9, v38, s0
	v_mul_u32_u24_e32 v14, 0x91a3, v14
	v_lshrrev_b32_e32 v19, 24, v19
	global_load_b64 v[62:63], v[37:38], off offset:1760
	v_add_co_u32 v37, s0, s8, v60
	s_wait_alu 0xf1ff
	v_add_co_ci_u32_e64 v38, s0, s9, v61, s0
	v_lshrrev_b32_e32 v14, 24, v14
	v_lshlrev_b64_e32 v[60:61], 2, v[5:6]
	v_mul_lo_u16 v19, 0x1c2, v19
	global_load_b64 v[64:65], v[37:38], off offset:1760
	v_mul_lo_u16 v5, 0x1c2, v14
	v_mul_u32_u24_e32 v14, 0xa8c, v14
	v_add_co_u32 v37, s0, s8, v60
	s_wait_alu 0xf1ff
	v_add_co_ci_u32_e64 v38, s0, s9, v61, s0
	v_sub_nc_u16 v5, v21, v5
	v_sub_nc_u16 v19, v22, v19
	v_cmp_lt_u32_e64 s0, 44, v15
	global_load_b64 v[60:61], v[37:38], off offset:1760
	v_and_b32_e32 v38, 0xffff, v24
	v_and_b32_e32 v74, 0xffff, v5
	v_mul_u32_u24_e32 v5, 0x91a3, v39
	v_and_b32_e32 v19, 0xffff, v19
	s_delay_alu instid0(VALU_DEP_3) | instskip(NEXT) | instid1(VALU_DEP_3)
	v_lshlrev_b32_e32 v37, 3, v74
	v_lshrrev_b32_e32 v5, 24, v5
	v_lshlrev_b32_e32 v74, 1, v74
	global_load_b64 v[66:67], v37, s[8:9] offset:1760
	v_mul_lo_u16 v5, 0x1c2, v5
	v_mul_u32_u24_e32 v37, 0x91a3, v38
	v_lshlrev_b32_e32 v38, 3, v19
	v_add3_u32 v14, 0, v14, v74
	s_delay_alu instid0(VALU_DEP_4) | instskip(NEXT) | instid1(VALU_DEP_4)
	v_sub_nc_u16 v5, v23, v5
	v_lshrrev_b32_e32 v39, 24, v37
	global_load_b64 v[68:69], v38, s[8:9] offset:1760
	v_and_b32_e32 v37, 0xffff, v5
	v_mul_lo_u16 v5, 0x1c2, v39
	s_delay_alu instid0(VALU_DEP_2) | instskip(NEXT) | instid1(VALU_DEP_2)
	v_lshlrev_b32_e32 v38, 3, v37
	v_sub_nc_u16 v5, v24, v5
	global_load_b64 v[70:71], v38, s[8:9] offset:1760
	v_and_b32_e32 v38, 0xffff, v5
	s_delay_alu instid0(VALU_DEP_1)
	v_lshlrev_b32_e32 v5, 3, v38
	global_load_b64 v[72:73], v5, s[8:9] offset:1760
	ds_load_u16 v39, v0 offset:2700
	ds_load_u16 v76, v0 offset:5940
	;; [unrolled: 1-line block ×18, first 2 shown]
	s_wait_loadcnt 0x9
	v_lshrrev_b32_e32 v87, 16, v54
	v_lshrrev_b32_e32 v88, 16, v55
	s_wait_dscnt 0x11
	s_delay_alu instid0(VALU_DEP_2)
	v_mul_f16_e32 v96, v39, v87
	v_mul_f16_e32 v87, v75, v87
	s_wait_dscnt 0xb
	v_mul_f16_e32 v98, v84, v88
	s_wait_loadcnt 0x8
	v_lshrrev_b32_e32 v99, 16, v56
	v_fmac_f16_e32 v96, v75, v54
	v_mul_f16_e32 v75, v83, v88
	v_fma_f16 v39, v39, v54, -v87
	v_fmac_f16_e32 v98, v83, v55
	s_wait_dscnt 0x9
	v_mul_f16_e32 v83, v86, v99
	v_lshrrev_b32_e32 v54, 16, v57
	v_fma_f16 v75, v84, v55, -v75
	v_mul_f16_e32 v55, v78, v99
	s_wait_loadcnt 0x7
	v_lshrrev_b32_e32 v84, 16, v58
	v_fmac_f16_e32 v83, v78, v56
	v_mul_f16_e32 v78, v85, v54
	v_mul_f16_e32 v54, v81, v54
	v_fma_f16 v86, v86, v56, -v55
	s_wait_dscnt 0x7
	v_mul_f16_e32 v87, v89, v84
	v_lshrrev_b32_e32 v55, 16, v59
	v_fmac_f16_e32 v78, v81, v57
	v_fma_f16 v57, v85, v57, -v54
	v_mul_f16_e32 v54, v53, v84
	v_fmac_f16_e32 v87, v53, v58
	v_mul_f16_e32 v53, v76, v55
	v_mul_f16_e32 v55, v51, v55
	s_delay_alu instid0(VALU_DEP_4)
	v_fma_f16 v58, v89, v58, -v54
	s_wait_loadcnt 0x6
	v_lshrrev_b32_e32 v56, 16, v62
	v_lshrrev_b32_e32 v54, 16, v63
	v_fmac_f16_e32 v53, v51, v59
	v_fma_f16 v59, v76, v59, -v55
	s_wait_dscnt 0x6
	v_mul_f16_e32 v51, v90, v56
	v_mul_f16_e32 v55, v52, v56
	;; [unrolled: 1-line block ×4, first 2 shown]
	s_delay_alu instid0(VALU_DEP_4)
	v_fmac_f16_e32 v51, v52, v62
	s_wait_loadcnt 0x5
	v_lshrrev_b32_e32 v52, 16, v64
	v_fmac_f16_e32 v76, v50, v63
	v_fma_f16 v50, v77, v63, -v54
	v_lshrrev_b32_e32 v54, 16, v65
	ds_load_u16 v77, v0 offset:7290
	ds_load_u16 v81, v0 offset:7560
	s_wait_dscnt 0x7
	v_mul_f16_e32 v63, v91, v52
	v_mul_f16_e32 v52, v49, v52
	v_fma_f16 v62, v90, v62, -v55
	v_mul_f16_e32 v84, v79, v54
	v_mul_f16_e32 v54, v48, v54
	v_fmac_f16_e32 v63, v49, v64
	s_wait_loadcnt 0x4
	v_lshrrev_b32_e32 v49, 16, v60
	v_fma_f16 v52, v91, v64, -v52
	v_fmac_f16_e32 v84, v48, v65
	v_lshrrev_b32_e32 v48, 16, v61
	v_fma_f16 v64, v79, v65, -v54
	s_wait_dscnt 0x6
	v_mul_f16_e32 v65, v92, v49
	v_mul_f16_e32 v49, v47, v49
	ds_load_u16 v54, v20 offset:2430
	v_mul_f16_e32 v79, v80, v48
	v_mul_f16_e32 v48, v46, v48
	v_fmac_f16_e32 v65, v47, v60
	s_wait_loadcnt 0x3
	v_lshrrev_b32_e32 v47, 16, v66
	v_fma_f16 v49, v92, v60, -v49
	v_fmac_f16_e32 v79, v46, v61
	v_fma_f16 v46, v80, v61, -v48
	v_lshrrev_b32_e32 v48, 16, v67
	s_wait_dscnt 0x6
	v_mul_f16_e32 v60, v93, v47
	v_mul_f16_e32 v47, v45, v47
	s_wait_loadcnt 0x2
	v_lshrrev_b32_e32 v80, 16, v68
	v_lshrrev_b32_e32 v85, 16, v69
	ds_load_u16 v55, v20 offset:2160
	ds_load_u16 v56, v20 offset:1890
	;; [unrolled: 1-line block ×3, first 2 shown]
	v_fmac_f16_e32 v60, v45, v66
	v_mul_f16_e32 v45, v82, v48
	v_mul_f16_e32 v48, v42, v48
	v_fma_f16 v47, v93, v66, -v47
	s_wait_dscnt 0x8
	v_mul_f16_e32 v66, v94, v80
	v_fmac_f16_e32 v45, v42, v67
	v_fma_f16 v42, v82, v67, -v48
	v_mul_f16_e32 v48, v44, v80
	s_delay_alu instid0(VALU_DEP_4)
	v_fmac_f16_e32 v66, v44, v68
	s_wait_dscnt 0x5
	v_mul_f16_e32 v44, v77, v85
	s_wait_loadcnt 0x1
	v_lshrrev_b32_e32 v67, 16, v70
	v_mul_f16_e32 v80, v43, v85
	v_fma_f16 v48, v94, v68, -v48
	v_lshrrev_b32_e32 v68, 16, v71
	v_fmac_f16_e32 v44, v43, v69
	v_mul_f16_e32 v43, v95, v67
	v_fma_f16 v69, v77, v69, -v80
	v_mul_f16_e32 v67, v41, v67
	s_wait_dscnt 0x4
	v_mul_f16_e32 v77, v81, v68
	v_mul_f16_e32 v68, v40, v68
	v_fmac_f16_e32 v43, v41, v70
	s_wait_loadcnt 0x0
	v_lshrrev_b32_e32 v41, 16, v72
	v_fma_f16 v67, v95, v70, -v67
	v_fmac_f16_e32 v77, v40, v71
	v_fma_f16 v40, v81, v71, -v68
	ds_load_u16 v71, v0
	ds_load_u16 v80, v0 offset:270
	ds_load_u16 v81, v0 offset:540
	;; [unrolled: 1-line block ×5, first 2 shown]
	v_lshrrev_b32_e32 v68, 16, v73
	v_mul_f16_e32 v70, v97, v41
	v_mul_f16_e32 v41, v36, v41
	global_wb scope:SCOPE_SE
	s_wait_dscnt 0x0
	s_barrier_signal -1
	v_mul_f16_e32 v89, v61, v68
	v_fmac_f16_e32 v70, v36, v72
	v_mul_f16_e32 v36, v35, v68
	v_add_f16_e32 v68, v96, v98
	v_fma_f16 v41, v97, v72, -v41
	v_fmac_f16_e32 v89, v35, v73
	v_add_f16_e32 v35, v30, v96
	v_fma_f16 v36, v61, v73, -v36
	v_add_f16_e32 v61, v39, v75
	v_fmac_f16_e32 v30, -0.5, v68
	v_sub_f16_e32 v68, v39, v75
	v_add_f16_e32 v39, v71, v39
	v_add_f16_e32 v35, v35, v98
	v_fmac_f16_e32 v71, -0.5, v61
	v_sub_f16_e32 v61, v96, v98
	v_fmamk_f16 v72, v68, 0xbaee, v30
	v_fmac_f16_e32 v30, 0x3aee, v68
	v_add_f16_e32 v68, v39, v75
	v_add_f16_e32 v39, v83, v78
	v_fmamk_f16 v73, v61, 0x3aee, v71
	v_add_f16_e32 v75, v32, v83
	v_fmac_f16_e32 v71, 0xbaee, v61
	v_add_f16_e32 v61, v86, v57
	v_fmac_f16_e32 v32, -0.5, v39
	v_sub_f16_e32 v39, v86, v57
	v_add_f16_e32 v75, v75, v78
	v_add_f16_e32 v86, v80, v86
	v_fmac_f16_e32 v80, -0.5, v61
	v_sub_f16_e32 v61, v83, v78
	v_fmamk_f16 v78, v39, 0xbaee, v32
	v_fmac_f16_e32 v32, 0x3aee, v39
	v_add_f16_e32 v39, v87, v53
	v_add_f16_e32 v57, v86, v57
	v_fmamk_f16 v83, v61, 0x3aee, v80
	v_add_f16_e32 v86, v33, v87
	v_fmac_f16_e32 v80, 0xbaee, v61
	;; [unrolled: 14-line block ×3, first 2 shown]
	v_add_f16_e32 v53, v62, v50
	v_fmac_f16_e32 v28, -0.5, v39
	v_sub_f16_e32 v39, v62, v50
	v_add_f16_e32 v62, v82, v62
	v_sub_f16_e32 v51, v51, v76
	v_fmac_f16_e32 v82, -0.5, v53
	v_add_f16_e32 v87, v87, v76
	v_fmamk_f16 v53, v39, 0xbaee, v28
	v_fmac_f16_e32 v28, 0x3aee, v39
	v_add_f16_e32 v39, v63, v84
	v_add_f16_e32 v62, v62, v50
	v_fmamk_f16 v76, v51, 0x3aee, v82
	v_add_f16_e32 v50, v26, v63
	v_fmac_f16_e32 v82, 0xbaee, v51
	v_add_f16_e32 v51, v52, v64
	v_fmac_f16_e32 v26, -0.5, v39
	v_sub_f16_e32 v39, v52, v64
	v_add_f16_e32 v52, v85, v52
	v_add_f16_e32 v50, v50, v84
	v_fmac_f16_e32 v85, -0.5, v51
	v_sub_f16_e32 v51, v63, v84
	v_fmamk_f16 v63, v39, 0xbaee, v26
	v_fmac_f16_e32 v26, 0x3aee, v39
	v_add_f16_e32 v39, v65, v79
	v_add_f16_e32 v64, v52, v64
	v_fmamk_f16 v84, v51, 0x3aee, v85
	v_add_f16_e32 v52, v27, v65
	v_fmac_f16_e32 v85, 0xbaee, v51
	v_add_f16_e32 v51, v49, v46
	v_fmac_f16_e32 v27, -0.5, v39
	v_sub_f16_e32 v39, v49, v46
	v_add_f16_e32 v49, v88, v49
	v_add_f16_e32 v52, v52, v79
	v_fmac_f16_e32 v88, -0.5, v51
	v_sub_f16_e32 v51, v65, v79
	v_fmamk_f16 v65, v39, 0xbaee, v27
	v_fmac_f16_e32 v27, 0x3aee, v39
	v_add_f16_e32 v39, v60, v45
	v_add_f16_e32 v79, v49, v46
	;; [unrolled: 1-line block ×4, first 2 shown]
	s_barrier_wait -1
	v_fmac_f16_e32 v25, -0.5, v39
	v_sub_f16_e32 v39, v47, v42
	v_add_f16_e32 v46, v46, v45
	v_add_f16_e32 v47, v5, v47
	v_fmac_f16_e32 v5, -0.5, v49
	v_sub_f16_e32 v45, v60, v45
	v_fmamk_f16 v49, v39, 0xbaee, v25
	v_fmac_f16_e32 v25, 0x3aee, v39
	v_add_f16_e32 v39, v66, v44
	v_add_f16_e32 v60, v47, v42
	v_fmamk_f16 v91, v45, 0x3aee, v5
	v_add_f16_e32 v42, v34, v66
	v_fmac_f16_e32 v5, 0xbaee, v45
	v_add_f16_e32 v45, v48, v69
	v_fmac_f16_e32 v34, -0.5, v39
	v_sub_f16_e32 v39, v48, v69
	v_add_f16_e32 v42, v42, v44
	v_add_f16_e32 v47, v56, v48
	v_fmac_f16_e32 v56, -0.5, v45
	v_sub_f16_e32 v44, v66, v44
	v_fmamk_f16 v45, v39, 0xbaee, v34
	v_fmac_f16_e32 v34, 0x3aee, v39
	v_add_f16_e32 v39, v43, v77
	v_add_f16_e32 v66, v47, v69
	v_fmamk_f16 v69, v44, 0x3aee, v56
	v_add_f16_e32 v47, v31, v43
	v_fmac_f16_e32 v56, 0xbaee, v44
	v_add_f16_e32 v44, v67, v40
	v_fmac_f16_e32 v31, -0.5, v39
	v_sub_f16_e32 v39, v67, v40
	v_add_f16_e32 v48, v55, v67
	v_sub_f16_e32 v43, v43, v77
	v_fmac_f16_e32 v55, -0.5, v44
	v_add_f16_e32 v47, v47, v77
	v_fmamk_f16 v44, v39, 0xbaee, v31
	v_fmac_f16_e32 v31, 0x3aee, v39
	v_add_f16_e32 v39, v70, v89
	v_add_f16_e32 v67, v48, v40
	v_fmamk_f16 v77, v43, 0x3aee, v55
	v_fmac_f16_e32 v55, 0xbaee, v43
	v_add_f16_e32 v40, v41, v36
	v_add_f16_e32 v43, v29, v70
	v_fmac_f16_e32 v29, -0.5, v39
	v_sub_f16_e32 v39, v41, v36
	v_add_f16_e32 v41, v54, v41
	v_fmac_f16_e32 v54, -0.5, v40
	v_sub_f16_e32 v40, v70, v89
	global_inv scope:SCOPE_SE
	ds_store_b16 v0, v35
	ds_store_b16 v0, v75 offset:270
	ds_store_b16 v0, v78 offset:1170
	;; [unrolled: 1-line block ×4, first 2 shown]
	v_add_f16_e32 v70, v41, v36
	s_wait_alu 0xf1ff
	v_cndmask_b32_e64 v36, 0, 0xa8c, s0
	ds_store_b16 v0, v32 offset:2070
	ds_store_b16 v0, v30 offset:1800
	;; [unrolled: 1-line block ×4, first 2 shown]
	v_lshl_add_u32 v61, v19, 1, 0
	v_add_f16_e32 v43, v43, v89
	v_fmamk_f16 v48, v39, 0xbaee, v29
	v_add3_u32 v13, 0, v36, v13
	ds_store_b16 v13, v87
	ds_store_b16 v13, v53 offset:900
	ds_store_b16 v13, v28 offset:1800
	;; [unrolled: 1-line block ×8, first 2 shown]
	v_lshl_add_u32 v63, v37, 1, 0
	v_fmac_f16_e32 v29, 0x3aee, v39
	v_fmamk_f16 v90, v51, 0x3aee, v88
	v_fmac_f16_e32 v88, 0xbaee, v51
	v_fmamk_f16 v89, v40, 0x3aee, v54
	v_fmac_f16_e32 v54, 0xbaee, v40
	ds_store_b16 v14, v46
	ds_store_b16 v14, v49 offset:900
	ds_store_b16 v14, v25 offset:1800
	v_lshl_add_u32 v65, v38, 1, 0
	ds_store_b16 v61, v42 offset:5400
	ds_store_b16 v61, v45 offset:6300
	;; [unrolled: 1-line block ×9, first 2 shown]
	global_wb scope:SCOPE_SE
	s_wait_dscnt 0x0
	s_barrier_signal -1
	s_barrier_wait -1
	global_inv scope:SCOPE_SE
	ds_load_u16 v34, v0
	ds_load_u16 v36, v0 offset:270
	ds_load_u16 v38, v0 offset:540
	ds_load_u16 v19, v0 offset:810
	ds_load_u16 v25, v0 offset:1080
	ds_load_u16 v27, v0 offset:1350
	ds_load_u16 v44, v0 offset:2700
	ds_load_u16 v30, v0 offset:1620
	ds_load_u16 v46, v0 offset:5940
	ds_load_u16 v26, v0 offset:6210
	ds_load_u16 v29, v0 offset:6480
	ds_load_u16 v32, v0 offset:6750
	ds_load_u16 v37, v0 offset:7020
	ds_load_u16 v48, v0 offset:2970
	ds_load_u16 v49, v0 offset:3240
	ds_load_u16 v28, v0 offset:3510
	ds_load_u16 v31, v0 offset:3780
	ds_load_u16 v33, v0 offset:4050
	ds_load_u16 v39, v0 offset:4320
	ds_load_u16 v41, v0 offset:4590
	ds_load_u16 v45, v0 offset:4860
	ds_load_u16 v42, v0 offset:7290
	ds_load_u16 v47, v0 offset:7560
	ds_load_u16 v43, v20 offset:2430
	ds_load_u16 v51, v0 offset:5670
	ds_load_u16 v50, v0 offset:5400
	ds_load_u16 v52, v0 offset:5130
	ds_load_u16 v40, v20 offset:2160
	ds_load_u16 v35, v20 offset:1890
	ds_load_u16 v53, v0 offset:7830
	global_wb scope:SCOPE_SE
	s_wait_dscnt 0x0
	s_barrier_signal -1
	s_barrier_wait -1
	global_inv scope:SCOPE_SE
	ds_store_b16 v0, v68
	ds_store_b16 v0, v57 offset:270
	ds_store_b16 v0, v83 offset:1170
	ds_store_b16 v0, v73 offset:900
	ds_store_b16 v0, v58 offset:540
	ds_store_b16 v0, v80 offset:2070
	ds_store_b16 v0, v71 offset:1800
	ds_store_b16 v0, v59 offset:1440
	ds_store_b16 v0, v81 offset:2340
	ds_store_b16 v13, v62
	ds_store_b16 v13, v76 offset:900
	ds_store_b16 v13, v82 offset:1800
	ds_store_b16 v20, v64 offset:2880
	ds_store_b16 v20, v79 offset:3150
	ds_store_b16 v20, v84 offset:3780
	ds_store_b16 v20, v90 offset:4050
	ds_store_b16 v20, v85 offset:4680
	ds_store_b16 v20, v88 offset:4950
	;; [unrolled: 9-line block ×3, first 2 shown]
	ds_store_b16 v65, v70 offset:5400
	ds_store_b16 v65, v89 offset:6300
	;; [unrolled: 1-line block ×3, first 2 shown]
	global_wb scope:SCOPE_SE
	s_wait_dscnt 0x0
	s_barrier_signal -1
	s_barrier_wait -1
	global_inv scope:SCOPE_SE
	s_and_saveexec_b32 s0, vcc_lo
	s_cbranch_execz .LBB0_15
; %bb.14:
	v_mul_hi_u32 v62, 0xc22e4507, v15
	v_lshlrev_b32_e32 v5, 1, v24
	v_dual_mov_b32 v61, v6 :: v_dual_add_nc_u32 v60, 0x87, v15
	v_add_nc_u32_e32 v63, 0x10e, v15
	v_add_nc_u32_e32 v102, 0x195, v15
	s_delay_alu instid0(VALU_DEP_3)
	v_mul_hi_u32 v64, 0xc22e4507, v60
	v_lshrrev_b32_e32 v65, 10, v62
	v_mov_b32_e32 v62, v6
	v_lshlrev_b64_e32 v[13:14], 2, v[5:6]
	v_lshlrev_b32_e32 v5, 1, v23
	v_mul_hi_u32 v66, 0xc22e4507, v102
	v_lshrrev_b32_e32 v64, 10, v64
	s_delay_alu instid0(VALU_DEP_3) | instskip(SKIP_4) | instid1(VALU_DEP_3)
	v_lshlrev_b64_e32 v[23:24], 2, v[5:6]
	v_lshlrev_b32_e32 v5, 1, v22
	v_add_co_u32 v13, vcc_lo, s8, v13
	s_wait_alu 0xfffd
	v_add_co_ci_u32_e32 v14, vcc_lo, s9, v14, vcc_lo
	v_lshlrev_b64_e32 v[54:55], 2, v[5:6]
	v_lshlrev_b32_e32 v5, 1, v21
	v_add_co_u32 v23, vcc_lo, s8, v23
	s_wait_alu 0xfffd
	v_add_co_ci_u32_e32 v24, vcc_lo, s9, v24, vcc_lo
	s_delay_alu instid0(VALU_DEP_3)
	v_lshlrev_b64_e32 v[21:22], 2, v[5:6]
	v_lshlrev_b32_e32 v5, 1, v18
	s_clause 0x3
	global_load_b64 v[13:14], v[13:14], off offset:5360
	global_load_b64 v[11:12], v[11:12], off offset:5360
	;; [unrolled: 1-line block ×4, first 2 shown]
	v_add_co_u32 v54, vcc_lo, s8, v54
	global_load_b64 v[23:24], v[23:24], off offset:5360
	s_wait_alu 0xfffd
	v_add_co_ci_u32_e32 v55, vcc_lo, s9, v55, vcc_lo
	v_lshlrev_b64_e32 v[56:57], 2, v[5:6]
	v_lshlrev_b32_e32 v5, 1, v17
	v_add_co_u32 v21, vcc_lo, s8, v21
	global_load_b64 v[54:55], v[54:55], off offset:5360
	s_wait_alu 0xfffd
	v_add_co_ci_u32_e32 v22, vcc_lo, s9, v22, vcc_lo
	v_lshlrev_b64_e32 v[17:18], 2, v[5:6]
	v_lshlrev_b32_e32 v5, 1, v16
	v_add_co_u32 v56, vcc_lo, s8, v56
	global_load_b64 v[21:22], v[21:22], off offset:5360
	s_wait_alu 0xfffd
	v_add_co_ci_u32_e32 v57, vcc_lo, s9, v57, vcc_lo
	v_lshlrev_b64_e32 v[58:59], 2, v[5:6]
	v_add_co_u32 v17, vcc_lo, s8, v17
	global_load_b64 v[56:57], v[56:57], off offset:5360
	s_wait_alu 0xfffd
	v_add_co_ci_u32_e32 v18, vcc_lo, s9, v18, vcc_lo
	v_add_co_u32 v58, vcc_lo, s8, v58
	s_wait_alu 0xfffd
	v_add_co_ci_u32_e32 v59, vcc_lo, s9, v59, vcc_lo
	global_load_b64 v[17:18], v[17:18], off offset:5360
	v_mul_lo_u32 v5, s3, v3
	v_mul_lo_u32 v16, s2, v4
	global_load_b64 v[58:59], v[58:59], off offset:5360
	v_mad_co_u64_u32 v[3:4], null, s2, v3, 0
	ds_load_u16 v73, v0 offset:5130
	ds_load_u16 v74, v20 offset:2430
	;; [unrolled: 1-line block ×22, first 2 shown]
	ds_load_u16 v94, v0
	ds_load_u16 v95, v0 offset:7020
	ds_load_u16 v96, v0 offset:6750
	;; [unrolled: 1-line block ×7, first 2 shown]
	v_lshlrev_b64_e32 v[0:1], 2, v[1:2]
	v_mul_hi_u32 v2, 0xc22e4507, v63
	v_lshrrev_b32_e32 v103, 10, v66
	v_add3_u32 v4, v4, v16, v5
	v_mul_u32_u24_e32 v5, 0x546, v65
	v_mul_u32_u24_e32 v65, 0x546, v64
	v_lshrrev_b32_e32 v16, 10, v2
	s_delay_alu instid0(VALU_DEP_4) | instskip(NEXT) | instid1(VALU_DEP_4)
	v_lshlrev_b64_e32 v[2:3], 2, v[3:4]
	v_sub_nc_u32_e32 v4, v15, v5
	s_delay_alu instid0(VALU_DEP_4) | instskip(NEXT) | instid1(VALU_DEP_4)
	v_sub_nc_u32_e32 v60, v60, v65
	v_mul_u32_u24_e32 v5, 0x546, v16
	s_delay_alu instid0(VALU_DEP_4) | instskip(SKIP_2) | instid1(VALU_DEP_3)
	v_add_co_u32 v2, vcc_lo, s6, v2
	s_wait_alu 0xfffd
	v_add_co_ci_u32_e32 v3, vcc_lo, s7, v3, vcc_lo
	v_sub_nc_u32_e32 v69, v63, v5
	v_mad_u32_u24 v5, 0xfd2, v64, v60
	v_lshlrev_b32_e32 v4, 2, v4
	v_add_co_u32 v0, vcc_lo, v2, v0
	s_wait_alu 0xfffd
	v_add_co_ci_u32_e32 v1, vcc_lo, v3, v1, vcc_lo
	v_lshlrev_b64_e32 v[2:3], 2, v[5:6]
	v_add_nc_u32_e32 v60, 0x546, v5
	v_add_nc_u32_e32 v5, 0xa8c, v5
	v_add_co_u32 v63, vcc_lo, v0, v4
	s_wait_alu 0xfffd
	v_add_co_ci_u32_e32 v64, vcc_lo, 0, v1, vcc_lo
	s_delay_alu instid0(VALU_DEP_3)
	v_lshlrev_b64_e32 v[67:68], 2, v[5:6]
	v_mad_u32_u24 v5, 0xfd2, v16, v69
	v_add_co_u32 v69, vcc_lo, v0, v2
	s_wait_alu 0xfffd
	v_add_co_ci_u32_e32 v70, vcc_lo, v1, v3, vcc_lo
	v_lshlrev_b64_e32 v[65:66], 2, v[60:61]
	v_lshlrev_b64_e32 v[71:72], 2, v[5:6]
	v_add_nc_u32_e32 v61, 0x546, v5
	v_add_nc_u32_e32 v5, 0xa8c, v5
	s_delay_alu instid0(VALU_DEP_4)
	v_add_co_u32 v65, vcc_lo, v0, v65
	s_wait_alu 0xfffd
	v_add_co_ci_u32_e32 v66, vcc_lo, v1, v66, vcc_lo
	v_add_co_u32 v67, vcc_lo, v0, v67
	s_wait_alu 0xfffd
	v_add_co_ci_u32_e32 v68, vcc_lo, v1, v68, vcc_lo
	s_wait_loadcnt 0x9
	v_lshrrev_b32_e32 v2, 16, v13
	v_lshrrev_b32_e32 v3, 16, v14
	s_wait_loadcnt 0x8
	v_lshrrev_b32_e32 v4, 16, v11
	v_lshrrev_b32_e32 v16, 16, v12
	;; [unrolled: 3-line block ×4, first 2 shown]
	v_mul_f16_e32 v107, v52, v2
	v_mul_f16_e32 v108, v53, v3
	s_wait_dscnt 0x1d
	v_mul_f16_e32 v2, v73, v2
	s_wait_dscnt 0x19
	v_mul_f16_e32 v109, v76, v3
	s_wait_loadcnt 0x5
	v_lshrrev_b32_e32 v3, 16, v23
	v_lshrrev_b32_e32 v110, 16, v24
	v_mul_f16_e32 v111, v49, v4
	v_mul_f16_e32 v112, v46, v16
	s_wait_dscnt 0x10
	v_mul_f16_e32 v4, v85, v4
	s_wait_dscnt 0x2
	v_mul_f16_e32 v16, v99, v16
	v_mul_f16_e32 v113, v48, v60
	;; [unrolled: 1-line block ×4, first 2 shown]
	s_wait_dscnt 0x1
	v_mul_f16_e32 v104, v100, v104
	v_mul_f16_e32 v115, v44, v105
	;; [unrolled: 1-line block ×4, first 2 shown]
	s_wait_dscnt 0x0
	v_mul_f16_e32 v106, v101, v106
	v_fma_f16 v73, v13, v73, -v107
	v_fma_f16 v76, v14, v76, -v108
	v_fmac_f16_e32 v2, v52, v13
	v_fmac_f16_e32 v109, v53, v14
	v_mul_f16_e32 v13, v45, v3
	v_mul_f16_e32 v14, v47, v110
	;; [unrolled: 1-line block ×4, first 2 shown]
	s_wait_loadcnt 0x4
	v_lshrrev_b32_e32 v3, 16, v54
	v_lshrrev_b32_e32 v107, 16, v55
	v_fma_f16 v85, v11, v85, -v111
	v_fmac_f16_e32 v4, v49, v11
	v_fmac_f16_e32 v16, v46, v12
	v_fma_f16 v11, v9, v86, -v113
	v_fmac_f16_e32 v60, v48, v9
	v_fmac_f16_e32 v104, v51, v10
	;; [unrolled: 3-line block ×3, first 2 shown]
	v_add_f16_e32 v7, v73, v76
	v_add_f16_e32 v44, v74, v73
	;; [unrolled: 1-line block ×4, first 2 shown]
	v_fma_f16 v13, v23, v79, -v13
	v_fma_f16 v14, v24, v77, -v14
	v_fmac_f16_e32 v52, v45, v23
	v_fmac_f16_e32 v53, v47, v24
	v_mul_f16_e32 v23, v41, v3
	v_mul_f16_e32 v24, v42, v107
	;; [unrolled: 1-line block ×4, first 2 shown]
	s_wait_loadcnt 0x3
	v_lshrrev_b32_e32 v50, 16, v21
	v_lshrrev_b32_e32 v51, 16, v22
	v_fma_f16 v99, v12, v99, -v112
	v_fma_f16 v12, v10, v100, -v114
	;; [unrolled: 1-line block ×3, first 2 shown]
	v_sub_f16_e32 v8, v2, v109
	v_sub_f16_e32 v48, v73, v76
	;; [unrolled: 1-line block ×3, first 2 shown]
	v_add_f16_e32 v79, v92, v85
	v_add_f16_e32 v86, v4, v16
	;; [unrolled: 1-line block ×3, first 2 shown]
	v_sub_f16_e32 v101, v60, v104
	v_add_f16_e32 v107, v93, v11
	v_add_f16_e32 v108, v60, v104
	;; [unrolled: 1-line block ×3, first 2 shown]
	v_sub_f16_e32 v111, v105, v106
	v_add_f16_e32 v112, v94, v9
	v_add_f16_e32 v113, v105, v106
	;; [unrolled: 1-line block ×3, first 2 shown]
	v_fma_f16 v2, -0.5, v7, v74
	v_add_f16_e32 v4, v44, v76
	v_fma_f16 v3, -0.5, v46, v43
	v_add_f16_e32 v7, v49, v109
	v_sub_f16_e32 v44, v52, v53
	v_add_f16_e32 v46, v75, v13
	v_add_f16_e32 v49, v52, v53
	;; [unrolled: 1-line block ×3, first 2 shown]
	v_fma_f16 v23, v54, v80, -v23
	v_fma_f16 v24, v55, v78, -v24
	v_fmac_f16_e32 v45, v41, v54
	v_fmac_f16_e32 v47, v42, v55
	v_mul_f16_e32 v41, v39, v50
	v_mul_f16_e32 v42, v37, v51
	;; [unrolled: 1-line block ×4, first 2 shown]
	s_wait_loadcnt 0x2
	v_lshrrev_b32_e32 v54, 16, v56
	v_lshrrev_b32_e32 v55, 16, v57
	v_add_f16_e32 v110, v9, v10
	v_add_f16_e32 v73, v85, v99
	v_sub_f16_e32 v85, v85, v99
	v_add_f16_e32 v100, v11, v12
	v_sub_f16_e32 v11, v11, v12
	v_sub_f16_e32 v9, v9, v10
	v_add_f16_e32 v43, v13, v14
	v_sub_f16_e32 v13, v13, v14
	v_add_f16_e32 v74, v79, v99
	v_fma_f16 v38, -0.5, v86, v38
	v_add_f16_e32 v12, v107, v12
	v_add_f16_e32 v60, v60, v104
	;; [unrolled: 1-line block ×3, first 2 shown]
	v_fma_f16 v34, -0.5, v113, v34
	v_add_f16_e32 v79, v105, v106
	v_fmamk_f16 v80, v8, 0xbaee, v2
	v_fmac_f16_e32 v2, 0x3aee, v8
	v_fmamk_f16 v86, v48, 0x3aee, v3
	v_fmac_f16_e32 v3, 0xbaee, v48
	v_add_f16_e32 v46, v46, v14
	v_fma_f16 v40, -0.5, v49, v40
	v_add_f16_e32 v48, v52, v53
	v_add_f16_e32 v8, v23, v24
	v_sub_f16_e32 v14, v45, v47
	v_add_f16_e32 v49, v20, v23
	v_add_f16_e32 v52, v45, v47
	;; [unrolled: 1-line block ×3, first 2 shown]
	v_fma_f16 v41, v21, v81, -v41
	v_fma_f16 v42, v22, v95, -v42
	v_fmac_f16_e32 v50, v39, v21
	v_fmac_f16_e32 v51, v37, v22
	v_mul_f16_e32 v21, v33, v54
	v_mul_f16_e32 v22, v32, v55
	;; [unrolled: 1-line block ×4, first 2 shown]
	s_wait_loadcnt 0x1
	v_lshrrev_b32_e32 v53, 16, v17
	v_lshrrev_b32_e32 v54, 16, v18
	v_fma_f16 v36, -0.5, v108, v36
	v_fma_f16 v78, -0.5, v110, v94
	v_fma_f16 v43, -0.5, v43, v75
	v_sub_f16_e32 v23, v23, v24
	v_fmamk_f16 v75, v85, 0x3aee, v38
	v_fmac_f16_e32 v38, 0xbaee, v85
	v_fmamk_f16 v85, v9, 0x3aee, v34
	v_fmac_f16_e32 v34, 0xbaee, v9
	v_pack_b32_f16 v9, v79, v10
	v_pack_b32_f16 v10, v60, v12
	v_fma_f16 v79, -0.5, v8, v20
	v_add_f16_e32 v24, v49, v24
	v_fma_f16 v35, -0.5, v52, v35
	v_add_f16_e32 v45, v45, v47
	v_add_f16_e32 v8, v41, v42
	v_sub_f16_e32 v12, v50, v51
	v_add_f16_e32 v20, v50, v51
	v_add_f16_e32 v47, v30, v50
	v_fma_f16 v21, v56, v82, -v21
	v_fma_f16 v22, v57, v96, -v22
	v_fmac_f16_e32 v39, v32, v57
	v_mul_f16_e32 v32, v31, v53
	v_mul_f16_e32 v49, v83, v53
	v_mul_f16_e32 v50, v97, v54
	s_wait_loadcnt 0x0
	v_lshrrev_b32_e32 v52, 16, v58
	v_lshrrev_b32_e32 v53, 16, v59
	v_fmamk_f16 v81, v11, 0x3aee, v36
	v_fmac_f16_e32 v36, 0xbaee, v11
	v_fmamk_f16 v11, v111, 0xbaee, v78
	v_fmac_f16_e32 v78, 0x3aee, v111
	;; [unrolled: 2-line block ×4, first 2 shown]
	v_add_f16_e32 v13, v88, v41
	v_sub_f16_e32 v41, v41, v42
	v_fmac_f16_e32 v37, v33, v56
	v_mul_f16_e32 v33, v29, v54
	v_fmamk_f16 v56, v14, 0xbaee, v79
	v_fmac_f16_e32 v79, 0x3aee, v14
	v_fmamk_f16 v14, v23, 0x3aee, v35
	v_fmac_f16_e32 v35, 0xbaee, v23
	v_fma_f16 v23, -0.5, v8, v88
	v_fma_f16 v30, -0.5, v20, v30
	v_add_f16_e32 v8, v21, v22
	v_fmac_f16_e32 v49, v31, v17
	v_fmac_f16_e32 v50, v29, v18
	v_mul_f16_e32 v29, v84, v52
	v_mul_f16_e32 v31, v98, v53
	v_pack_b32_f16 v34, v34, v78
	v_pack_b32_f16 v11, v85, v11
	v_add_f16_e32 v42, v13, v42
	v_add_f16_e32 v20, v47, v51
	v_sub_f16_e32 v13, v37, v39
	v_add_f16_e32 v51, v37, v39
	v_add_f16_e32 v37, v27, v37
	v_fma_f16 v32, v17, v83, -v32
	v_fma_f16 v33, v18, v97, -v33
	v_mul_f16_e32 v17, v28, v52
	v_mul_f16_e32 v18, v26, v53
	s_clause 0x2
	global_store_b32 v[63:64], v9, off
	global_store_b32 v[63:64], v34, off offset:5400
	global_store_b32 v[63:64], v11, off offset:10800
	v_fmamk_f16 v34, v12, 0xbaee, v23
	v_fmac_f16_e32 v23, 0x3aee, v12
	v_fmamk_f16 v52, v41, 0x3aee, v30
	v_fmac_f16_e32 v30, 0xbaee, v41
	v_fma_f16 v41, -0.5, v8, v89
	v_add_f16_e32 v12, v49, v50
	v_fmac_f16_e32 v29, v28, v58
	v_fmac_f16_e32 v31, v26, v59
	v_add_f16_e32 v47, v89, v21
	v_sub_f16_e32 v21, v21, v22
	v_fma_f16 v27, -0.5, v51, v27
	v_add_f16_e32 v37, v37, v39
	v_add_f16_e32 v8, v32, v33
	;; [unrolled: 1-line block ×3, first 2 shown]
	v_sub_f16_e32 v32, v32, v33
	v_add_f16_e32 v39, v25, v49
	v_fma_f16 v17, v58, v84, -v17
	v_fma_f16 v18, v59, v98, -v18
	v_fmamk_f16 v26, v13, 0xbaee, v41
	v_fmac_f16_e32 v41, 0x3aee, v13
	v_fma_f16 v25, -0.5, v12, v25
	v_add_f16_e32 v13, v29, v31
	v_fma_f16 v73, -0.5, v73, v92
	v_fma_f16 v76, -0.5, v100, v93
	v_sub_f16_e32 v9, v49, v50
	v_fmamk_f16 v28, v21, 0x3aee, v27
	v_fmac_f16_e32 v27, 0xbaee, v21
	v_fma_f16 v21, -0.5, v8, v90
	v_add_f16_e32 v8, v17, v18
	v_add_f16_e32 v12, v91, v17
	v_sub_f16_e32 v17, v17, v18
	v_fmamk_f16 v49, v32, 0x3aee, v25
	v_fmac_f16_e32 v25, 0xbaee, v32
	v_fma_f16 v32, -0.5, v13, v19
	v_fmamk_f16 v55, v77, 0xbaee, v73
	v_fmac_f16_e32 v73, 0x3aee, v77
	v_fmamk_f16 v77, v101, 0xbaee, v76
	v_fmac_f16_e32 v76, 0x3aee, v101
	;; [unrolled: 2-line block ×3, first 2 shown]
	v_mul_u32_u24_e32 v17, 0x546, v103
	v_pack_b32_f16 v54, v81, v77
	v_pack_b32_f16 v36, v36, v76
	v_add_f16_e32 v51, v12, v18
	v_lshlrev_b64_e32 v[12:13], 2, v[5:6]
	v_sub_nc_u32_e32 v5, v102, v17
	v_add_f16_e32 v22, v47, v22
	v_add_f16_e32 v33, v11, v33
	;; [unrolled: 1-line block ×3, first 2 shown]
	v_sub_f16_e32 v11, v29, v31
	v_add_f16_e32 v29, v19, v29
	v_fmamk_f16 v47, v9, 0xbaee, v21
	v_fmac_f16_e32 v21, 0x3aee, v9
	v_fma_f16 v50, -0.5, v8, v91
	v_lshlrev_b64_e32 v[8:9], 2, v[61:62]
	s_clause 0x2
	global_store_b32 v[69:70], v10, off
	global_store_b32 v[65:66], v36, off
	;; [unrolled: 1-line block ×3, first 2 shown]
	v_add_nc_u32_e32 v54, 0x21c, v15
	v_add_co_u32 v10, vcc_lo, v0, v71
	v_add_f16_e32 v16, v87, v16
	v_mad_u32_u24 v5, 0xfd2, v103, v5
	v_add_f16_e32 v29, v29, v31
	v_fmamk_f16 v31, v11, 0xbaee, v50
	v_fmac_f16_e32 v50, 0x3aee, v11
	s_wait_alu 0xfffd
	v_add_co_ci_u32_e32 v11, vcc_lo, v1, v72, vcc_lo
	v_add_co_u32 v8, vcc_lo, v0, v8
	v_mul_hi_u32 v57, 0xc22e4507, v54
	s_wait_alu 0xfffd
	v_add_co_ci_u32_e32 v9, vcc_lo, v1, v9, vcc_lo
	v_pack_b32_f16 v36, v16, v74
	v_add_co_u32 v12, vcc_lo, v0, v12
	v_dual_mov_b32 v17, v6 :: v_dual_add_nc_u32 v16, 0x546, v5
	v_pack_b32_f16 v38, v38, v73
	s_wait_alu 0xfffd
	v_add_co_ci_u32_e32 v13, vcc_lo, v1, v13, vcc_lo
	v_pack_b32_f16 v55, v75, v55
	v_lshlrev_b64_e32 v[18:19], 2, v[5:6]
	s_clause 0x2
	global_store_b32 v[10:11], v36, off
	global_store_b32 v[8:9], v38, off
	;; [unrolled: 1-line block ×3, first 2 shown]
	v_lshlrev_b64_e32 v[8:9], 2, v[16:17]
	v_add_nc_u32_e32 v5, 0xa8c, v5
	v_lshrrev_b32_e32 v16, 10, v57
	v_add_co_u32 v10, vcc_lo, v0, v18
	s_wait_alu 0xfffd
	v_add_co_ci_u32_e32 v11, vcc_lo, v1, v19, vcc_lo
	v_lshlrev_b64_e32 v[12:13], 2, v[5:6]
	v_mul_u32_u24_e32 v5, 0x546, v16
	v_add_nc_u32_e32 v19, 0x2a3, v15
	v_add_co_u32 v8, vcc_lo, v0, v8
	s_wait_alu 0xfffd
	v_add_co_ci_u32_e32 v9, vcc_lo, v1, v9, vcc_lo
	v_sub_nc_u32_e32 v5, v54, v5
	v_pack_b32_f16 v17, v29, v51
	v_add_co_u32 v12, vcc_lo, v0, v12
	v_pack_b32_f16 v18, v32, v50
	s_delay_alu instid0(VALU_DEP_4)
	v_mad_u32_u24 v5, 0xfd2, v16, v5
	v_mul_hi_u32 v16, 0xc22e4507, v19
	s_wait_alu 0xfffd
	v_add_co_ci_u32_e32 v13, vcc_lo, v1, v13, vcc_lo
	v_pack_b32_f16 v29, v53, v31
	s_clause 0x2
	global_store_b32 v[10:11], v17, off
	global_store_b32 v[8:9], v18, off
	;; [unrolled: 1-line block ×3, first 2 shown]
	v_dual_mov_b32 v11, v6 :: v_dual_add_nc_u32 v10, 0x546, v5
	v_add_nc_u32_e32 v18, 0x32a, v15
	v_lshlrev_b64_e32 v[8:9], 2, v[5:6]
	v_add_nc_u32_e32 v5, 0xa8c, v5
	v_lshrrev_b32_e32 v16, 10, v16
	v_lshlrev_b64_e32 v[10:11], 2, v[10:11]
	v_mul_hi_u32 v29, 0xc22e4507, v18
	v_pack_b32_f16 v17, v39, v33
	v_add_co_u32 v8, vcc_lo, v0, v8
	v_lshlrev_b64_e32 v[12:13], 2, v[5:6]
	v_mul_u32_u24_e32 v5, 0x546, v16
	s_wait_alu 0xfffd
	v_add_co_ci_u32_e32 v9, vcc_lo, v1, v9, vcc_lo
	v_add_co_u32 v10, vcc_lo, v0, v10
	s_wait_alu 0xfffd
	v_add_co_ci_u32_e32 v11, vcc_lo, v1, v11, vcc_lo
	v_pack_b32_f16 v21, v25, v21
	v_sub_nc_u32_e32 v5, v19, v5
	v_add_co_u32 v12, vcc_lo, v0, v12
	v_lshrrev_b32_e32 v25, 10, v29
	s_wait_alu 0xfffd
	v_add_co_ci_u32_e32 v13, vcc_lo, v1, v13, vcc_lo
	v_pack_b32_f16 v19, v49, v47
	v_mad_u32_u24 v5, 0xfd2, v16, v5
	s_clause 0x2
	global_store_b32 v[8:9], v17, off
	global_store_b32 v[10:11], v21, off
	;; [unrolled: 1-line block ×3, first 2 shown]
	v_mul_u32_u24_e32 v12, 0x546, v25
	v_mov_b32_e32 v11, v6
	v_lshlrev_b64_e32 v[8:9], 2, v[5:6]
	v_add_nc_u32_e32 v10, 0x546, v5
	v_add_nc_u32_e32 v5, 0xa8c, v5
	v_sub_nc_u32_e32 v16, v18, v12
	v_pack_b32_f16 v26, v28, v26
	v_mov_b32_e32 v17, v6
	v_lshlrev_b64_e32 v[10:11], 2, v[10:11]
	v_lshlrev_b64_e32 v[12:13], 2, v[5:6]
	v_mad_u32_u24 v5, 0xfd2, v25, v16
	v_add_nc_u32_e32 v25, 0x3b1, v15
	v_add_co_u32 v8, vcc_lo, v0, v8
	s_wait_alu 0xfffd
	v_add_co_ci_u32_e32 v9, vcc_lo, v1, v9, vcc_lo
	s_delay_alu instid0(VALU_DEP_3)
	v_mul_hi_u32 v21, 0xc22e4507, v25
	v_add_nc_u32_e32 v16, 0x546, v5
	v_lshlrev_b64_e32 v[18:19], 2, v[5:6]
	v_add_nc_u32_e32 v5, 0xa8c, v5
	v_pack_b32_f16 v29, v20, v42
	v_add_co_u32 v10, vcc_lo, v0, v10
	s_wait_alu 0xfffd
	v_add_co_ci_u32_e32 v11, vcc_lo, v1, v11, vcc_lo
	v_lshrrev_b32_e32 v28, 10, v21
	v_lshlrev_b64_e32 v[20:21], 2, v[5:6]
	v_add_co_u32 v12, vcc_lo, v0, v12
	v_lshlrev_b64_e32 v[16:17], 2, v[16:17]
	s_delay_alu instid0(VALU_DEP_4) | instskip(SKIP_3) | instid1(VALU_DEP_3)
	v_mul_u32_u24_e32 v5, 0x546, v28
	s_wait_alu 0xfffd
	v_add_co_ci_u32_e32 v13, vcc_lo, v1, v13, vcc_lo
	v_add_co_u32 v18, vcc_lo, v0, v18
	v_sub_nc_u32_e32 v5, v25, v5
	v_add_nc_u32_e32 v25, 0x438, v15
	s_wait_alu 0xfffd
	v_add_co_ci_u32_e32 v19, vcc_lo, v1, v19, vcc_lo
	v_add_co_u32 v16, vcc_lo, v0, v16
	v_mad_u32_u24 v5, 0xfd2, v28, v5
	v_mul_hi_u32 v28, 0xc22e4507, v25
	s_wait_alu 0xfffd
	v_add_co_ci_u32_e32 v17, vcc_lo, v1, v17, vcc_lo
	v_pack_b32_f16 v22, v37, v22
	v_add_co_u32 v20, vcc_lo, v0, v20
	v_pack_b32_f16 v27, v27, v41
	v_pack_b32_f16 v23, v30, v23
	s_wait_alu 0xfffd
	v_add_co_ci_u32_e32 v21, vcc_lo, v1, v21, vcc_lo
	v_pack_b32_f16 v30, v52, v34
	s_clause 0x5
	global_store_b32 v[8:9], v22, off
	global_store_b32 v[10:11], v27, off
	;; [unrolled: 1-line block ×6, first 2 shown]
	v_lshrrev_b32_e32 v16, 10, v28
	v_add_nc_u32_e32 v18, 0x4bf, v15
	v_lshlrev_b64_e32 v[8:9], 2, v[5:6]
	v_add_nc_u32_e32 v10, 0x546, v5
	v_add_nc_u32_e32 v5, 0xa8c, v5
	v_mul_u32_u24_e32 v17, 0x546, v16
	v_mov_b32_e32 v11, v6
	v_mul_hi_u32 v15, 0xc22e4507, v18
	v_add_co_u32 v8, vcc_lo, v0, v8
	v_lshlrev_b64_e32 v[12:13], 2, v[5:6]
	v_sub_nc_u32_e32 v5, v25, v17
	v_mov_b32_e32 v17, v6
	v_lshlrev_b64_e32 v[10:11], 2, v[10:11]
	s_wait_alu 0xfffd
	v_add_co_ci_u32_e32 v9, vcc_lo, v1, v9, vcc_lo
	v_mad_u32_u24 v5, 0xfd2, v16, v5
	v_lshrrev_b32_e32 v21, 10, v15
	v_pack_b32_f16 v19, v45, v24
	v_add_co_u32 v10, vcc_lo, v0, v10
	s_wait_alu 0xfffd
	v_add_co_ci_u32_e32 v11, vcc_lo, v1, v11, vcc_lo
	v_add_co_u32 v12, vcc_lo, v0, v12
	v_add_nc_u32_e32 v16, 0x546, v5
	v_mul_u32_u24_e32 v23, 0x546, v21
	v_pack_b32_f16 v20, v35, v79
	s_wait_alu 0xfffd
	v_add_co_ci_u32_e32 v13, vcc_lo, v1, v13, vcc_lo
	v_pack_b32_f16 v22, v14, v56
	v_lshlrev_b64_e32 v[14:15], 2, v[5:6]
	s_clause 0x2
	global_store_b32 v[8:9], v19, off
	global_store_b32 v[10:11], v20, off
	;; [unrolled: 1-line block ×3, first 2 shown]
	v_lshlrev_b64_e32 v[8:9], 2, v[16:17]
	v_add_nc_u32_e32 v5, 0xa8c, v5
	v_sub_nc_u32_e32 v16, v18, v23
	v_add_co_u32 v10, vcc_lo, v0, v14
	s_wait_alu 0xfffd
	v_add_co_ci_u32_e32 v11, vcc_lo, v1, v15, vcc_lo
	v_lshlrev_b64_e32 v[12:13], 2, v[5:6]
	v_mad_u32_u24 v5, 0xfd2, v21, v16
	v_add_co_u32 v8, vcc_lo, v0, v8
	s_wait_alu 0xfffd
	v_add_co_ci_u32_e32 v9, vcc_lo, v1, v9, vcc_lo
	s_delay_alu instid0(VALU_DEP_3) | instskip(SKIP_3) | instid1(VALU_DEP_4)
	v_add_nc_u32_e32 v16, 0x546, v5
	v_lshlrev_b64_e32 v[14:15], 2, v[5:6]
	v_add_nc_u32_e32 v5, 0xa8c, v5
	v_add_co_u32 v12, vcc_lo, v0, v12
	v_lshlrev_b64_e32 v[16:17], 2, v[16:17]
	s_wait_alu 0xfffd
	v_add_co_ci_u32_e32 v13, vcc_lo, v1, v13, vcc_lo
	v_add_co_u32 v14, vcc_lo, v0, v14
	v_pack_b32_f16 v21, v7, v4
	v_lshlrev_b64_e32 v[4:5], 2, v[5:6]
	s_wait_alu 0xfffd
	v_add_co_ci_u32_e32 v15, vcc_lo, v1, v15, vcc_lo
	v_pack_b32_f16 v18, v48, v46
	v_add_co_u32 v6, vcc_lo, v0, v16
	v_pack_b32_f16 v19, v40, v43
	v_pack_b32_f16 v20, v44, v60
	s_wait_alu 0xfffd
	v_add_co_ci_u32_e32 v7, vcc_lo, v1, v17, vcc_lo
	v_add_co_u32 v0, vcc_lo, v0, v4
	v_pack_b32_f16 v2, v3, v2
	s_wait_alu 0xfffd
	v_add_co_ci_u32_e32 v1, vcc_lo, v1, v5, vcc_lo
	v_pack_b32_f16 v3, v86, v80
	s_clause 0x5
	global_store_b32 v[10:11], v18, off
	global_store_b32 v[8:9], v19, off
	;; [unrolled: 1-line block ×6, first 2 shown]
.LBB0_15:
	s_nop 0
	s_sendmsg sendmsg(MSG_DEALLOC_VGPRS)
	s_endpgm
	.section	.rodata,"a",@progbits
	.p2align	6, 0x0
	.amdhsa_kernel fft_rtc_back_len4050_factors_10_5_3_3_3_3_wgs_135_tpt_135_halfLds_half_op_CI_CI_unitstride_sbrr_dirReg
		.amdhsa_group_segment_fixed_size 0
		.amdhsa_private_segment_fixed_size 0
		.amdhsa_kernarg_size 104
		.amdhsa_user_sgpr_count 2
		.amdhsa_user_sgpr_dispatch_ptr 0
		.amdhsa_user_sgpr_queue_ptr 0
		.amdhsa_user_sgpr_kernarg_segment_ptr 1
		.amdhsa_user_sgpr_dispatch_id 0
		.amdhsa_user_sgpr_private_segment_size 0
		.amdhsa_wavefront_size32 1
		.amdhsa_uses_dynamic_stack 0
		.amdhsa_enable_private_segment 0
		.amdhsa_system_sgpr_workgroup_id_x 1
		.amdhsa_system_sgpr_workgroup_id_y 0
		.amdhsa_system_sgpr_workgroup_id_z 0
		.amdhsa_system_sgpr_workgroup_info 0
		.amdhsa_system_vgpr_workitem_id 0
		.amdhsa_next_free_vgpr 117
		.amdhsa_next_free_sgpr 39
		.amdhsa_reserve_vcc 1
		.amdhsa_float_round_mode_32 0
		.amdhsa_float_round_mode_16_64 0
		.amdhsa_float_denorm_mode_32 3
		.amdhsa_float_denorm_mode_16_64 3
		.amdhsa_fp16_overflow 0
		.amdhsa_workgroup_processor_mode 1
		.amdhsa_memory_ordered 1
		.amdhsa_forward_progress 0
		.amdhsa_round_robin_scheduling 0
		.amdhsa_exception_fp_ieee_invalid_op 0
		.amdhsa_exception_fp_denorm_src 0
		.amdhsa_exception_fp_ieee_div_zero 0
		.amdhsa_exception_fp_ieee_overflow 0
		.amdhsa_exception_fp_ieee_underflow 0
		.amdhsa_exception_fp_ieee_inexact 0
		.amdhsa_exception_int_div_zero 0
	.end_amdhsa_kernel
	.text
.Lfunc_end0:
	.size	fft_rtc_back_len4050_factors_10_5_3_3_3_3_wgs_135_tpt_135_halfLds_half_op_CI_CI_unitstride_sbrr_dirReg, .Lfunc_end0-fft_rtc_back_len4050_factors_10_5_3_3_3_3_wgs_135_tpt_135_halfLds_half_op_CI_CI_unitstride_sbrr_dirReg
                                        ; -- End function
	.section	.AMDGPU.csdata,"",@progbits
; Kernel info:
; codeLenInByte = 23244
; NumSgprs: 41
; NumVgprs: 117
; ScratchSize: 0
; MemoryBound: 0
; FloatMode: 240
; IeeeMode: 1
; LDSByteSize: 0 bytes/workgroup (compile time only)
; SGPRBlocks: 5
; VGPRBlocks: 14
; NumSGPRsForWavesPerEU: 41
; NumVGPRsForWavesPerEU: 117
; Occupancy: 12
; WaveLimiterHint : 1
; COMPUTE_PGM_RSRC2:SCRATCH_EN: 0
; COMPUTE_PGM_RSRC2:USER_SGPR: 2
; COMPUTE_PGM_RSRC2:TRAP_HANDLER: 0
; COMPUTE_PGM_RSRC2:TGID_X_EN: 1
; COMPUTE_PGM_RSRC2:TGID_Y_EN: 0
; COMPUTE_PGM_RSRC2:TGID_Z_EN: 0
; COMPUTE_PGM_RSRC2:TIDIG_COMP_CNT: 0
	.text
	.p2alignl 7, 3214868480
	.fill 96, 4, 3214868480
	.type	__hip_cuid_8ddc087d7fb5111a,@object ; @__hip_cuid_8ddc087d7fb5111a
	.section	.bss,"aw",@nobits
	.globl	__hip_cuid_8ddc087d7fb5111a
__hip_cuid_8ddc087d7fb5111a:
	.byte	0                               ; 0x0
	.size	__hip_cuid_8ddc087d7fb5111a, 1

	.ident	"AMD clang version 19.0.0git (https://github.com/RadeonOpenCompute/llvm-project roc-6.4.0 25133 c7fe45cf4b819c5991fe208aaa96edf142730f1d)"
	.section	".note.GNU-stack","",@progbits
	.addrsig
	.addrsig_sym __hip_cuid_8ddc087d7fb5111a
	.amdgpu_metadata
---
amdhsa.kernels:
  - .args:
      - .actual_access:  read_only
        .address_space:  global
        .offset:         0
        .size:           8
        .value_kind:     global_buffer
      - .offset:         8
        .size:           8
        .value_kind:     by_value
      - .actual_access:  read_only
        .address_space:  global
        .offset:         16
        .size:           8
        .value_kind:     global_buffer
      - .actual_access:  read_only
        .address_space:  global
        .offset:         24
        .size:           8
        .value_kind:     global_buffer
      - .actual_access:  read_only
        .address_space:  global
        .offset:         32
        .size:           8
        .value_kind:     global_buffer
      - .offset:         40
        .size:           8
        .value_kind:     by_value
      - .actual_access:  read_only
        .address_space:  global
        .offset:         48
        .size:           8
        .value_kind:     global_buffer
      - .actual_access:  read_only
        .address_space:  global
        .offset:         56
        .size:           8
        .value_kind:     global_buffer
      - .offset:         64
        .size:           4
        .value_kind:     by_value
      - .actual_access:  read_only
        .address_space:  global
        .offset:         72
        .size:           8
        .value_kind:     global_buffer
      - .actual_access:  read_only
        .address_space:  global
        .offset:         80
        .size:           8
        .value_kind:     global_buffer
      - .actual_access:  read_only
        .address_space:  global
        .offset:         88
        .size:           8
        .value_kind:     global_buffer
      - .actual_access:  write_only
        .address_space:  global
        .offset:         96
        .size:           8
        .value_kind:     global_buffer
    .group_segment_fixed_size: 0
    .kernarg_segment_align: 8
    .kernarg_segment_size: 104
    .language:       OpenCL C
    .language_version:
      - 2
      - 0
    .max_flat_workgroup_size: 135
    .name:           fft_rtc_back_len4050_factors_10_5_3_3_3_3_wgs_135_tpt_135_halfLds_half_op_CI_CI_unitstride_sbrr_dirReg
    .private_segment_fixed_size: 0
    .sgpr_count:     41
    .sgpr_spill_count: 0
    .symbol:         fft_rtc_back_len4050_factors_10_5_3_3_3_3_wgs_135_tpt_135_halfLds_half_op_CI_CI_unitstride_sbrr_dirReg.kd
    .uniform_work_group_size: 1
    .uses_dynamic_stack: false
    .vgpr_count:     117
    .vgpr_spill_count: 0
    .wavefront_size: 32
    .workgroup_processor_mode: 1
amdhsa.target:   amdgcn-amd-amdhsa--gfx1201
amdhsa.version:
  - 1
  - 2
...

	.end_amdgpu_metadata
